;; amdgpu-corpus repo=ROCm/composable_kernel kind=compiled arch=gfx1100 opt=O3
	.text
	.amdgcn_target "amdgcn-amd-amdhsa--gfx1100"
	.amdhsa_code_object_version 6
	.section	.text._ZN2ckL12flush_icacheEv,"axG",@progbits,_ZN2ckL12flush_icacheEv,comdat
	.globl	_ZN2ckL12flush_icacheEv         ; -- Begin function _ZN2ckL12flush_icacheEv
	.p2align	8
	.type	_ZN2ckL12flush_icacheEv,@function
_ZN2ckL12flush_icacheEv:                ; @_ZN2ckL12flush_icacheEv
; %bb.0:
	;;#ASMSTART
	s_icache_inv 
	s_nop 0 
	s_nop 0 
	;; [unrolled: 1-line block ×16, first 2 shown]
	
	;;#ASMEND
	s_endpgm
	.section	.rodata,"a",@progbits
	.p2align	6, 0x0
	.amdhsa_kernel _ZN2ckL12flush_icacheEv
		.amdhsa_group_segment_fixed_size 0
		.amdhsa_private_segment_fixed_size 0
		.amdhsa_kernarg_size 0
		.amdhsa_user_sgpr_count 15
		.amdhsa_user_sgpr_dispatch_ptr 0
		.amdhsa_user_sgpr_queue_ptr 0
		.amdhsa_user_sgpr_kernarg_segment_ptr 0
		.amdhsa_user_sgpr_dispatch_id 0
		.amdhsa_user_sgpr_private_segment_size 0
		.amdhsa_wavefront_size32 1
		.amdhsa_uses_dynamic_stack 0
		.amdhsa_enable_private_segment 0
		.amdhsa_system_sgpr_workgroup_id_x 1
		.amdhsa_system_sgpr_workgroup_id_y 0
		.amdhsa_system_sgpr_workgroup_id_z 0
		.amdhsa_system_sgpr_workgroup_info 0
		.amdhsa_system_vgpr_workitem_id 0
		.amdhsa_next_free_vgpr 1
		.amdhsa_next_free_sgpr 1
		.amdhsa_reserve_vcc 0
		.amdhsa_float_round_mode_32 0
		.amdhsa_float_round_mode_16_64 0
		.amdhsa_float_denorm_mode_32 3
		.amdhsa_float_denorm_mode_16_64 3
		.amdhsa_dx10_clamp 1
		.amdhsa_ieee_mode 1
		.amdhsa_fp16_overflow 0
		.amdhsa_workgroup_processor_mode 1
		.amdhsa_memory_ordered 1
		.amdhsa_forward_progress 0
		.amdhsa_shared_vgpr_count 0
		.amdhsa_exception_fp_ieee_invalid_op 0
		.amdhsa_exception_fp_denorm_src 0
		.amdhsa_exception_fp_ieee_div_zero 0
		.amdhsa_exception_fp_ieee_overflow 0
		.amdhsa_exception_fp_ieee_underflow 0
		.amdhsa_exception_fp_ieee_inexact 0
		.amdhsa_exception_int_div_zero 0
	.end_amdhsa_kernel
	.section	.text._ZN2ckL12flush_icacheEv,"axG",@progbits,_ZN2ckL12flush_icacheEv,comdat
.Lfunc_end0:
	.size	_ZN2ckL12flush_icacheEv, .Lfunc_end0-_ZN2ckL12flush_icacheEv
                                        ; -- End function
	.section	.AMDGPU.csdata,"",@progbits
; Kernel info:
; codeLenInByte = 344
; NumSgprs: 0
; NumVgprs: 0
; ScratchSize: 0
; MemoryBound: 0
; FloatMode: 240
; IeeeMode: 1
; LDSByteSize: 0 bytes/workgroup (compile time only)
; SGPRBlocks: 0
; VGPRBlocks: 0
; NumSGPRsForWavesPerEU: 1
; NumVGPRsForWavesPerEU: 1
; Occupancy: 16
; WaveLimiterHint : 0
; COMPUTE_PGM_RSRC2:SCRATCH_EN: 0
; COMPUTE_PGM_RSRC2:USER_SGPR: 15
; COMPUTE_PGM_RSRC2:TRAP_HANDLER: 0
; COMPUTE_PGM_RSRC2:TGID_X_EN: 1
; COMPUTE_PGM_RSRC2:TGID_Y_EN: 0
; COMPUTE_PGM_RSRC2:TGID_Z_EN: 0
; COMPUTE_PGM_RSRC2:TIDIG_COMP_CNT: 0
	.section	.text._ZN2ck16kernel_gemm_wmmaINS_17GridwiseGemm_WmmaILi128EaaiiaLNS_25InMemoryDataOperationEnumE0ENS_16TensorDescriptorINS_5TupleIJNS_5EmbedINS4_IJiiEEENS4_IJiNS_17integral_constantIiLi1EEEEEELb0EEENS_8RightPadIiiLb0EEESC_NS_7UnMergeINS4_IJiNS7_IiLi2EEEEEELb0EEENS_11PassThroughIiEEEEENS4_IJNS_8SequenceIJLi0EEEENSK_IJLi1EEEENSK_IJLi2EEEENSK_IJLi4EEEENSK_IJLi3EEEEEEENS4_IJNSK_IJLi1ELi2EEEESP_SO_NSK_IJLi5ELi6EEEENSK_IJLi7EEEEEEENSK_IJLi5ELi7ELi6EEEElEESW_NS3_INS4_IJSA_SC_SC_EEENS4_IJSL_SM_SN_EEENS4_IJSR_SP_SO_EEENSK_IJLi3ELi4EEEElEENS_16tensor_operation12element_wise11PassThroughES14_S14_Li64ELi128ELi64ELi16ELi16ELi2ELi2ELi4ENSK_IJLi4ELi32ELi1EEEENSK_IJLi1ELi0ELi2EEEES16_Li2ELi2ELi2ELb0ELb1ELb1ES15_S16_S16_Li2ELi2ELi2ELb0ELb1ELb1ELi1ELi1ENSK_IJLi1ELi32ELi1ELi4EEEELi8ELi1ELNS_13LoopSchedulerE0ELNS_15PipelineVersionE0EEEaaaSW_SW_NS3_INS4_IJSA_SC_SC_NSD_INS4_IJiNS7_IiLi64EEEEEELb0EEENSD_INS4_IJiNS7_IiLi128EEEEEELb0EEEEEENS4_IJSL_SM_SN_SP_SO_EEENS4_IJSR_SP_SO_SS_NSK_IJLi7ELi8EEEEEEENSK_IJLi5ELi6ELi7ELi8EEEElEES14_S14_S14_NS_31BlockToCTileMap_M00_N0_M01AdaptILi64ELi128ES11_iEELb1EEEvPKT0_PKT1_PT2_T3_T4_T5_T6_T7_T8_T9_,"axG",@progbits,_ZN2ck16kernel_gemm_wmmaINS_17GridwiseGemm_WmmaILi128EaaiiaLNS_25InMemoryDataOperationEnumE0ENS_16TensorDescriptorINS_5TupleIJNS_5EmbedINS4_IJiiEEENS4_IJiNS_17integral_constantIiLi1EEEEEELb0EEENS_8RightPadIiiLb0EEESC_NS_7UnMergeINS4_IJiNS7_IiLi2EEEEEELb0EEENS_11PassThroughIiEEEEENS4_IJNS_8SequenceIJLi0EEEENSK_IJLi1EEEENSK_IJLi2EEEENSK_IJLi4EEEENSK_IJLi3EEEEEEENS4_IJNSK_IJLi1ELi2EEEESP_SO_NSK_IJLi5ELi6EEEENSK_IJLi7EEEEEEENSK_IJLi5ELi7ELi6EEEElEESW_NS3_INS4_IJSA_SC_SC_EEENS4_IJSL_SM_SN_EEENS4_IJSR_SP_SO_EEENSK_IJLi3ELi4EEEElEENS_16tensor_operation12element_wise11PassThroughES14_S14_Li64ELi128ELi64ELi16ELi16ELi2ELi2ELi4ENSK_IJLi4ELi32ELi1EEEENSK_IJLi1ELi0ELi2EEEES16_Li2ELi2ELi2ELb0ELb1ELb1ES15_S16_S16_Li2ELi2ELi2ELb0ELb1ELb1ELi1ELi1ENSK_IJLi1ELi32ELi1ELi4EEEELi8ELi1ELNS_13LoopSchedulerE0ELNS_15PipelineVersionE0EEEaaaSW_SW_NS3_INS4_IJSA_SC_SC_NSD_INS4_IJiNS7_IiLi64EEEEEELb0EEENSD_INS4_IJiNS7_IiLi128EEEEEELb0EEEEEENS4_IJSL_SM_SN_SP_SO_EEENS4_IJSR_SP_SO_SS_NSK_IJLi7ELi8EEEEEEENSK_IJLi5ELi6ELi7ELi8EEEElEES14_S14_S14_NS_31BlockToCTileMap_M00_N0_M01AdaptILi64ELi128ES11_iEELb1EEEvPKT0_PKT1_PT2_T3_T4_T5_T6_T7_T8_T9_,comdat
	.protected	_ZN2ck16kernel_gemm_wmmaINS_17GridwiseGemm_WmmaILi128EaaiiaLNS_25InMemoryDataOperationEnumE0ENS_16TensorDescriptorINS_5TupleIJNS_5EmbedINS4_IJiiEEENS4_IJiNS_17integral_constantIiLi1EEEEEELb0EEENS_8RightPadIiiLb0EEESC_NS_7UnMergeINS4_IJiNS7_IiLi2EEEEEELb0EEENS_11PassThroughIiEEEEENS4_IJNS_8SequenceIJLi0EEEENSK_IJLi1EEEENSK_IJLi2EEEENSK_IJLi4EEEENSK_IJLi3EEEEEEENS4_IJNSK_IJLi1ELi2EEEESP_SO_NSK_IJLi5ELi6EEEENSK_IJLi7EEEEEEENSK_IJLi5ELi7ELi6EEEElEESW_NS3_INS4_IJSA_SC_SC_EEENS4_IJSL_SM_SN_EEENS4_IJSR_SP_SO_EEENSK_IJLi3ELi4EEEElEENS_16tensor_operation12element_wise11PassThroughES14_S14_Li64ELi128ELi64ELi16ELi16ELi2ELi2ELi4ENSK_IJLi4ELi32ELi1EEEENSK_IJLi1ELi0ELi2EEEES16_Li2ELi2ELi2ELb0ELb1ELb1ES15_S16_S16_Li2ELi2ELi2ELb0ELb1ELb1ELi1ELi1ENSK_IJLi1ELi32ELi1ELi4EEEELi8ELi1ELNS_13LoopSchedulerE0ELNS_15PipelineVersionE0EEEaaaSW_SW_NS3_INS4_IJSA_SC_SC_NSD_INS4_IJiNS7_IiLi64EEEEEELb0EEENSD_INS4_IJiNS7_IiLi128EEEEEELb0EEEEEENS4_IJSL_SM_SN_SP_SO_EEENS4_IJSR_SP_SO_SS_NSK_IJLi7ELi8EEEEEEENSK_IJLi5ELi6ELi7ELi8EEEElEES14_S14_S14_NS_31BlockToCTileMap_M00_N0_M01AdaptILi64ELi128ES11_iEELb1EEEvPKT0_PKT1_PT2_T3_T4_T5_T6_T7_T8_T9_ ; -- Begin function _ZN2ck16kernel_gemm_wmmaINS_17GridwiseGemm_WmmaILi128EaaiiaLNS_25InMemoryDataOperationEnumE0ENS_16TensorDescriptorINS_5TupleIJNS_5EmbedINS4_IJiiEEENS4_IJiNS_17integral_constantIiLi1EEEEEELb0EEENS_8RightPadIiiLb0EEESC_NS_7UnMergeINS4_IJiNS7_IiLi2EEEEEELb0EEENS_11PassThroughIiEEEEENS4_IJNS_8SequenceIJLi0EEEENSK_IJLi1EEEENSK_IJLi2EEEENSK_IJLi4EEEENSK_IJLi3EEEEEEENS4_IJNSK_IJLi1ELi2EEEESP_SO_NSK_IJLi5ELi6EEEENSK_IJLi7EEEEEEENSK_IJLi5ELi7ELi6EEEElEESW_NS3_INS4_IJSA_SC_SC_EEENS4_IJSL_SM_SN_EEENS4_IJSR_SP_SO_EEENSK_IJLi3ELi4EEEElEENS_16tensor_operation12element_wise11PassThroughES14_S14_Li64ELi128ELi64ELi16ELi16ELi2ELi2ELi4ENSK_IJLi4ELi32ELi1EEEENSK_IJLi1ELi0ELi2EEEES16_Li2ELi2ELi2ELb0ELb1ELb1ES15_S16_S16_Li2ELi2ELi2ELb0ELb1ELb1ELi1ELi1ENSK_IJLi1ELi32ELi1ELi4EEEELi8ELi1ELNS_13LoopSchedulerE0ELNS_15PipelineVersionE0EEEaaaSW_SW_NS3_INS4_IJSA_SC_SC_NSD_INS4_IJiNS7_IiLi64EEEEEELb0EEENSD_INS4_IJiNS7_IiLi128EEEEEELb0EEEEEENS4_IJSL_SM_SN_SP_SO_EEENS4_IJSR_SP_SO_SS_NSK_IJLi7ELi8EEEEEEENSK_IJLi5ELi6ELi7ELi8EEEElEES14_S14_S14_NS_31BlockToCTileMap_M00_N0_M01AdaptILi64ELi128ES11_iEELb1EEEvPKT0_PKT1_PT2_T3_T4_T5_T6_T7_T8_T9_
	.globl	_ZN2ck16kernel_gemm_wmmaINS_17GridwiseGemm_WmmaILi128EaaiiaLNS_25InMemoryDataOperationEnumE0ENS_16TensorDescriptorINS_5TupleIJNS_5EmbedINS4_IJiiEEENS4_IJiNS_17integral_constantIiLi1EEEEEELb0EEENS_8RightPadIiiLb0EEESC_NS_7UnMergeINS4_IJiNS7_IiLi2EEEEEELb0EEENS_11PassThroughIiEEEEENS4_IJNS_8SequenceIJLi0EEEENSK_IJLi1EEEENSK_IJLi2EEEENSK_IJLi4EEEENSK_IJLi3EEEEEEENS4_IJNSK_IJLi1ELi2EEEESP_SO_NSK_IJLi5ELi6EEEENSK_IJLi7EEEEEEENSK_IJLi5ELi7ELi6EEEElEESW_NS3_INS4_IJSA_SC_SC_EEENS4_IJSL_SM_SN_EEENS4_IJSR_SP_SO_EEENSK_IJLi3ELi4EEEElEENS_16tensor_operation12element_wise11PassThroughES14_S14_Li64ELi128ELi64ELi16ELi16ELi2ELi2ELi4ENSK_IJLi4ELi32ELi1EEEENSK_IJLi1ELi0ELi2EEEES16_Li2ELi2ELi2ELb0ELb1ELb1ES15_S16_S16_Li2ELi2ELi2ELb0ELb1ELb1ELi1ELi1ENSK_IJLi1ELi32ELi1ELi4EEEELi8ELi1ELNS_13LoopSchedulerE0ELNS_15PipelineVersionE0EEEaaaSW_SW_NS3_INS4_IJSA_SC_SC_NSD_INS4_IJiNS7_IiLi64EEEEEELb0EEENSD_INS4_IJiNS7_IiLi128EEEEEELb0EEEEEENS4_IJSL_SM_SN_SP_SO_EEENS4_IJSR_SP_SO_SS_NSK_IJLi7ELi8EEEEEEENSK_IJLi5ELi6ELi7ELi8EEEElEES14_S14_S14_NS_31BlockToCTileMap_M00_N0_M01AdaptILi64ELi128ES11_iEELb1EEEvPKT0_PKT1_PT2_T3_T4_T5_T6_T7_T8_T9_
	.p2align	8
	.type	_ZN2ck16kernel_gemm_wmmaINS_17GridwiseGemm_WmmaILi128EaaiiaLNS_25InMemoryDataOperationEnumE0ENS_16TensorDescriptorINS_5TupleIJNS_5EmbedINS4_IJiiEEENS4_IJiNS_17integral_constantIiLi1EEEEEELb0EEENS_8RightPadIiiLb0EEESC_NS_7UnMergeINS4_IJiNS7_IiLi2EEEEEELb0EEENS_11PassThroughIiEEEEENS4_IJNS_8SequenceIJLi0EEEENSK_IJLi1EEEENSK_IJLi2EEEENSK_IJLi4EEEENSK_IJLi3EEEEEEENS4_IJNSK_IJLi1ELi2EEEESP_SO_NSK_IJLi5ELi6EEEENSK_IJLi7EEEEEEENSK_IJLi5ELi7ELi6EEEElEESW_NS3_INS4_IJSA_SC_SC_EEENS4_IJSL_SM_SN_EEENS4_IJSR_SP_SO_EEENSK_IJLi3ELi4EEEElEENS_16tensor_operation12element_wise11PassThroughES14_S14_Li64ELi128ELi64ELi16ELi16ELi2ELi2ELi4ENSK_IJLi4ELi32ELi1EEEENSK_IJLi1ELi0ELi2EEEES16_Li2ELi2ELi2ELb0ELb1ELb1ES15_S16_S16_Li2ELi2ELi2ELb0ELb1ELb1ELi1ELi1ENSK_IJLi1ELi32ELi1ELi4EEEELi8ELi1ELNS_13LoopSchedulerE0ELNS_15PipelineVersionE0EEEaaaSW_SW_NS3_INS4_IJSA_SC_SC_NSD_INS4_IJiNS7_IiLi64EEEEEELb0EEENSD_INS4_IJiNS7_IiLi128EEEEEELb0EEEEEENS4_IJSL_SM_SN_SP_SO_EEENS4_IJSR_SP_SO_SS_NSK_IJLi7ELi8EEEEEEENSK_IJLi5ELi6ELi7ELi8EEEElEES14_S14_S14_NS_31BlockToCTileMap_M00_N0_M01AdaptILi64ELi128ES11_iEELb1EEEvPKT0_PKT1_PT2_T3_T4_T5_T6_T7_T8_T9_,@function
_ZN2ck16kernel_gemm_wmmaINS_17GridwiseGemm_WmmaILi128EaaiiaLNS_25InMemoryDataOperationEnumE0ENS_16TensorDescriptorINS_5TupleIJNS_5EmbedINS4_IJiiEEENS4_IJiNS_17integral_constantIiLi1EEEEEELb0EEENS_8RightPadIiiLb0EEESC_NS_7UnMergeINS4_IJiNS7_IiLi2EEEEEELb0EEENS_11PassThroughIiEEEEENS4_IJNS_8SequenceIJLi0EEEENSK_IJLi1EEEENSK_IJLi2EEEENSK_IJLi4EEEENSK_IJLi3EEEEEEENS4_IJNSK_IJLi1ELi2EEEESP_SO_NSK_IJLi5ELi6EEEENSK_IJLi7EEEEEEENSK_IJLi5ELi7ELi6EEEElEESW_NS3_INS4_IJSA_SC_SC_EEENS4_IJSL_SM_SN_EEENS4_IJSR_SP_SO_EEENSK_IJLi3ELi4EEEElEENS_16tensor_operation12element_wise11PassThroughES14_S14_Li64ELi128ELi64ELi16ELi16ELi2ELi2ELi4ENSK_IJLi4ELi32ELi1EEEENSK_IJLi1ELi0ELi2EEEES16_Li2ELi2ELi2ELb0ELb1ELb1ES15_S16_S16_Li2ELi2ELi2ELb0ELb1ELb1ELi1ELi1ENSK_IJLi1ELi32ELi1ELi4EEEELi8ELi1ELNS_13LoopSchedulerE0ELNS_15PipelineVersionE0EEEaaaSW_SW_NS3_INS4_IJSA_SC_SC_NSD_INS4_IJiNS7_IiLi64EEEEEELb0EEENSD_INS4_IJiNS7_IiLi128EEEEEELb0EEEEEENS4_IJSL_SM_SN_SP_SO_EEENS4_IJSR_SP_SO_SS_NSK_IJLi7ELi8EEEEEEENSK_IJLi5ELi6ELi7ELi8EEEElEES14_S14_S14_NS_31BlockToCTileMap_M00_N0_M01AdaptILi64ELi128ES11_iEELb1EEEvPKT0_PKT1_PT2_T3_T4_T5_T6_T7_T8_T9_: ; @_ZN2ck16kernel_gemm_wmmaINS_17GridwiseGemm_WmmaILi128EaaiiaLNS_25InMemoryDataOperationEnumE0ENS_16TensorDescriptorINS_5TupleIJNS_5EmbedINS4_IJiiEEENS4_IJiNS_17integral_constantIiLi1EEEEEELb0EEENS_8RightPadIiiLb0EEESC_NS_7UnMergeINS4_IJiNS7_IiLi2EEEEEELb0EEENS_11PassThroughIiEEEEENS4_IJNS_8SequenceIJLi0EEEENSK_IJLi1EEEENSK_IJLi2EEEENSK_IJLi4EEEENSK_IJLi3EEEEEEENS4_IJNSK_IJLi1ELi2EEEESP_SO_NSK_IJLi5ELi6EEEENSK_IJLi7EEEEEEENSK_IJLi5ELi7ELi6EEEElEESW_NS3_INS4_IJSA_SC_SC_EEENS4_IJSL_SM_SN_EEENS4_IJSR_SP_SO_EEENSK_IJLi3ELi4EEEElEENS_16tensor_operation12element_wise11PassThroughES14_S14_Li64ELi128ELi64ELi16ELi16ELi2ELi2ELi4ENSK_IJLi4ELi32ELi1EEEENSK_IJLi1ELi0ELi2EEEES16_Li2ELi2ELi2ELb0ELb1ELb1ES15_S16_S16_Li2ELi2ELi2ELb0ELb1ELb1ELi1ELi1ENSK_IJLi1ELi32ELi1ELi4EEEELi8ELi1ELNS_13LoopSchedulerE0ELNS_15PipelineVersionE0EEEaaaSW_SW_NS3_INS4_IJSA_SC_SC_NSD_INS4_IJiNS7_IiLi64EEEEEELb0EEENSD_INS4_IJiNS7_IiLi128EEEEEELb0EEEEEENS4_IJSL_SM_SN_SP_SO_EEENS4_IJSR_SP_SO_SS_NSK_IJLi7ELi8EEEEEEENSK_IJLi5ELi6ELi7ELi8EEEElEES14_S14_S14_NS_31BlockToCTileMap_M00_N0_M01AdaptILi64ELi128ES11_iEELb1EEEvPKT0_PKT1_PT2_T3_T4_T5_T6_T7_T8_T9_
; %bb.0:
	s_clause 0x1
	s_load_b64 s[2:3], s[0:1], 0xfc
	s_load_b32 s4, s[0:1], 0x104
	s_abs_i32 s9, s15
	v_dual_mov_b32 v49, 0 :: v_dual_and_b32 v64, 0xfc, v0
	v_lshrrev_b32_e32 v85, 1, v0
	s_clause 0x1
	s_load_b32 s21, s[0:1], 0x20
	s_load_b32 s66, s[0:1], 0xa0
	s_mov_b32 s63, 0x31004000
	v_dual_mov_b32 v53, v49 :: v_dual_and_b32 v70, 0x7e, v85
	s_mov_b32 s67, s63
	v_lshrrev_b32_e32 v69, 6, v0
	v_bfe_u32 v71, v0, 1, 3
	v_dual_mov_b32 v25, v49 :: v_dual_lshlrev_b32 v74, 1, v64
	v_mov_b32_e32 v8, v49
	v_mov_b32_e32 v27, v49
	v_and_b32_e32 v93, 15, v0
	v_dual_mov_b32 v23, v49 :: v_dual_and_b32 v72, 32, v0
	s_waitcnt lgkmcnt(0)
	s_add_i32 s2, s2, 63
	s_addk_i32 s3, 0x7f
	s_ashr_i32 s5, s2, 31
	s_ashr_i32 s6, s3, 31
	s_lshr_b32 s5, s5, 26
	s_lshr_b32 s6, s6, 25
	s_add_i32 s2, s2, s5
	s_add_i32 s3, s3, s6
	s_ashr_i32 s5, s2, 6
	s_ashr_i32 s3, s3, 7
	v_mov_b32_e32 v7, v49
	s_mul_i32 s6, s3, s5
	v_mov_b32_e32 v9, v49
	s_abs_i32 s6, s6
	v_mov_b32_e32 v11, v49
	v_cvt_f32_u32_e32 v1, s6
	s_sub_i32 s8, 0, s6
	v_mov_b32_e32 v13, v49
	v_mov_b32_e32 v15, v49
	;; [unrolled: 1-line block ×3, first 2 shown]
	v_rcp_iflag_f32_e32 v1, v1
	v_mov_b32_e32 v41, v49
	v_mov_b32_e32 v42, v49
	;; [unrolled: 1-line block ×6, first 2 shown]
	v_dual_mov_b32 v47, v49 :: v_dual_lshlrev_b32 v68, 3, v0
	s_delay_alu instid0(TRANS32_DEP_1) | instskip(SKIP_1) | instid1(VALU_DEP_3)
	v_dual_mov_b32 v48, v49 :: v_dual_mul_f32 v1, 0x4f7ffffe, v1
	v_mov_b32_e32 v57, v49
	v_dual_mov_b32 v58, v49 :: v_dual_and_b32 v133, 24, v68
	v_mov_b32_e32 v52, v49
	s_delay_alu instid0(VALU_DEP_4) | instskip(SKIP_3) | instid1(VALU_DEP_4)
	v_cvt_u32_f32_e32 v1, v1
	v_and_or_b32 v68, v68, 8, v71
	v_lshlrev_b32_e32 v71, 5, v69
	v_dual_mov_b32 v51, v49 :: v_dual_lshlrev_b32 v66, 1, v133
	v_readfirstlane_b32 s7, v1
	v_mov_b32_e32 v59, v49
	s_delay_alu instid0(VALU_DEP_4)
	v_lshl_or_b32 v134, v68, 1, v71
	v_mad_u32_u24 v68, 0x102, v133, v74
	v_or_b32_e32 v74, 2, v66
	s_mul_i32 s8, s8, s7
	v_or_b32_e32 v75, 4, v66
	s_mul_hi_u32 s8, s7, s8
	v_or_b32_e32 v128, 6, v66
	s_add_i32 s7, s7, s8
	s_ashr_i32 s8, s15, 31
	s_mul_hi_u32 s7, s9, s7
	v_or_b32_e32 v129, 8, v66
	s_mul_i32 s7, s7, s6
	v_or_b32_e32 v130, 10, v66
	s_sub_i32 s7, s9, s7
	v_or_b32_e32 v131, 12, v66
	s_sub_i32 s9, s7, s6
	s_cmp_ge_u32 s7, s6
	v_or_b32_e32 v132, 14, v66
	s_cselect_b32 s7, s9, s7
	v_mov_b32_e32 v31, v49
	s_sub_i32 s9, s7, s6
	s_cmp_ge_u32 s7, s6
	v_dual_mov_b32 v10, v49 :: v_dual_add_nc_u32 v71, 0x1344, v68
	s_cselect_b32 s6, s9, s7
	s_abs_i32 s7, s3
	s_xor_b32 s6, s6, s8
	v_cvt_f32_u32_e32 v1, s7
	s_sub_i32 s10, 0, s7
	s_sub_i32 s6, s6, s8
	v_mov_b32_e32 v60, v49
	v_mov_b32_e32 v61, v49
	v_rcp_iflag_f32_e32 v1, v1
	v_mov_b32_e32 v62, v49
	v_mov_b32_e32 v63, v49
	s_mov_b32 s72, 0
	v_mov_b32_e32 v50, v49
	v_mov_b32_e32 v54, v49
	;; [unrolled: 1-line block ×5, first 2 shown]
	s_delay_alu instid0(TRANS32_DEP_1)
	v_dual_mov_b32 v36, v49 :: v_dual_mul_f32 v1, 0x4f7ffffe, v1
	v_mov_b32_e32 v33, v49
	v_mov_b32_e32 v38, v49
	;; [unrolled: 1-line block ×4, first 2 shown]
	v_cvt_u32_f32_e32 v1, v1
	v_mov_b32_e32 v18, v49
	v_mov_b32_e32 v20, v49
	;; [unrolled: 1-line block ×4, first 2 shown]
	v_readfirstlane_b32 s9, v1
	v_mov_b32_e32 v39, v49
	v_mov_b32_e32 v17, v49
	;; [unrolled: 1-line block ×4, first 2 shown]
	s_mul_i32 s10, s10, s9
	v_mov_b32_e32 v28, v49
	s_mul_hi_u32 s8, s9, s10
	s_abs_i32 s10, s6
	s_add_i32 s9, s9, s8
	v_mov_b32_e32 v30, v49
	s_mul_hi_u32 s8, s10, s9
	s_xor_b32 s9, s6, s3
	s_mul_i32 s11, s8, s7
	s_ashr_i32 s9, s9, 31
	s_sub_i32 s10, s10, s11
	s_add_i32 s11, s8, 1
	s_sub_i32 s12, s10, s7
	s_cmp_ge_u32 s10, s7
	v_mov_b32_e32 v19, v49
	s_cselect_b32 s8, s11, s8
	s_cselect_b32 s10, s12, s10
	s_add_i32 s11, s8, 1
	s_cmp_ge_u32 s10, s7
	v_mov_b32_e32 v32, v49
	s_cselect_b32 s7, s11, s8
	s_abs_i32 s10, s4
	s_abs_i32 s12, s5
	v_cvt_f32_u32_e32 v1, s10
	s_sub_i32 s11, 0, s10
	s_xor_b32 s7, s7, s9
	s_ashr_i32 s2, s2, 31
	v_mov_b32_e32 v21, v49
	v_rcp_iflag_f32_e32 v1, v1
	s_waitcnt_depctr 0xfff
	v_mul_f32_e32 v1, 0x4f7ffffe, v1
	s_delay_alu instid0(VALU_DEP_1) | instskip(NEXT) | instid1(VALU_DEP_1)
	v_cvt_u32_f32_e32 v1, v1
	v_readfirstlane_b32 s8, v1
	s_delay_alu instid0(VALU_DEP_1) | instskip(NEXT) | instid1(SALU_CYCLE_1)
	s_mul_i32 s11, s11, s8
	s_mul_hi_u32 s11, s8, s11
	s_delay_alu instid0(SALU_CYCLE_1) | instskip(NEXT) | instid1(SALU_CYCLE_1)
	s_add_i32 s11, s8, s11
	s_mul_hi_u32 s8, s12, s11
	s_delay_alu instid0(SALU_CYCLE_1) | instskip(NEXT) | instid1(SALU_CYCLE_1)
	s_mul_i32 s8, s8, s10
	s_sub_i32 s12, s12, s8
	s_sub_i32 s8, s7, s9
	;; [unrolled: 1-line block ×3, first 2 shown]
	s_cmp_ge_u32 s12, s10
	s_cselect_b32 s7, s7, s12
	s_delay_alu instid0(SALU_CYCLE_1) | instskip(SKIP_2) | instid1(SALU_CYCLE_1)
	s_sub_i32 s9, s7, s10
	s_cmp_ge_u32 s7, s10
	s_cselect_b32 s7, s9, s7
	s_xor_b32 s7, s7, s2
	s_delay_alu instid0(SALU_CYCLE_1) | instskip(NEXT) | instid1(SALU_CYCLE_1)
	s_sub_i32 s2, s7, s2
	s_sub_i32 s5, s5, s2
	s_delay_alu instid0(SALU_CYCLE_1)
	s_cmp_lt_i32 s8, s5
	s_mul_i32 s5, s8, s3
	s_cselect_b32 s9, s4, s2
	s_abs_i32 s2, s8
	s_sub_i32 s5, s6, s5
	s_mul_hi_u32 s4, s2, s11
	s_delay_alu instid0(SALU_CYCLE_1) | instskip(NEXT) | instid1(SALU_CYCLE_1)
	s_mul_i32 s4, s4, s10
	s_sub_i32 s2, s2, s4
	s_ashr_i32 s4, s8, 31
	s_sub_i32 s6, s2, s10
	s_cmp_ge_u32 s2, s10
	s_cselect_b32 s2, s6, s2
	s_delay_alu instid0(SALU_CYCLE_1)
	s_sub_i32 s6, s2, s10
	s_cmp_ge_u32 s2, s10
	s_cselect_b32 s2, s6, s2
	s_abs_i32 s6, s9
	s_xor_b32 s2, s2, s4
	v_cvt_f32_u32_e32 v1, s6
	s_sub_i32 s10, s2, s4
	s_sub_i32 s2, 0, s6
	s_mul_i32 s3, s10, s3
	s_delay_alu instid0(VALU_DEP_1) | instskip(SKIP_1) | instid1(SALU_CYCLE_1)
	v_rcp_iflag_f32_e32 v1, v1
	s_add_i32 s11, s3, s5
	s_abs_i32 s3, s11
	s_xor_b32 s4, s11, s9
	s_delay_alu instid0(SALU_CYCLE_1) | instskip(SKIP_2) | instid1(VALU_DEP_1)
	s_ashr_i32 s12, s4, 31
	s_waitcnt_depctr 0xfff
	v_mul_f32_e32 v1, 0x4f7ffffe, v1
	v_cvt_u32_f32_e32 v1, v1
	s_delay_alu instid0(VALU_DEP_1) | instskip(NEXT) | instid1(VALU_DEP_1)
	v_readfirstlane_b32 s7, v1
	s_mul_i32 s2, s2, s7
	s_delay_alu instid0(SALU_CYCLE_1) | instskip(NEXT) | instid1(SALU_CYCLE_1)
	s_mul_hi_u32 s2, s7, s2
	s_add_i32 s7, s7, s2
	s_delay_alu instid0(SALU_CYCLE_1) | instskip(NEXT) | instid1(SALU_CYCLE_1)
	s_mul_hi_u32 s2, s3, s7
	s_mul_i32 s5, s2, s6
	s_delay_alu instid0(SALU_CYCLE_1)
	s_sub_i32 s4, s3, s5
	s_add_i32 s5, s2, 1
	s_sub_i32 s7, s4, s6
	s_cmp_ge_u32 s4, s6
	s_clause 0x1
	s_load_b32 s62, s[0:1], 0x58
	s_load_b32 s3, s[0:1], 0x68
	s_cselect_b32 s2, s5, s2
	s_cselect_b32 s4, s7, s4
	s_add_i32 s13, s2, 1
	s_cmp_ge_u32 s4, s6
	s_clause 0x1
	s_load_b128 s[4:7], s[0:1], 0x0
	s_load_b64 s[56:57], s[0:1], 0x10
	s_cselect_b32 s2, s13, s2
	s_delay_alu instid0(SALU_CYCLE_1) | instskip(NEXT) | instid1(SALU_CYCLE_1)
	s_xor_b32 s2, s2, s12
	s_sub_i32 s12, s2, s12
	s_clause 0x1
	s_load_b32 s2, s[0:1], 0x74
	s_load_b32 s70, s[0:1], 0x80
	s_lshl_b32 s69, s12, 7
	s_mul_i32 s12, s12, s9
	v_add_nc_u32_e32 v73, s69, v64
	s_clause 0x3
	s_load_b32 s55, s[0:1], 0xb0
	s_load_b32 s54, s[0:1], 0xbc
	;; [unrolled: 1-line block ×3, first 2 shown]
	s_load_b64 s[58:59], s[0:1], 0xf0
	s_waitcnt lgkmcnt(0)
	s_sub_i32 s59, s8, s10
	s_sub_i32 s8, s11, s12
	v_mov_b32_e32 v12, v49
	s_add_i32 s59, s59, s8
	v_mul_lo_u32 v65, v73, s3
	v_mov_b32_e32 v64, v49
	s_mov_b32 s64, s6
	s_mov_b32 s65, s7
	s_lshl_b32 s6, s59, 6
	s_mov_b32 s60, s4
	s_delay_alu instid0(VALU_DEP_2)
	v_add_nc_u32_e32 v1, v65, v66
	v_add_nc_u32_e32 v76, s6, v70
	s_mov_b32 s61, s5
	v_mov_b32_e32 v14, v49
	v_cmp_gt_i32_e64 s8, s70, v74
	s_clause 0x2
	buffer_load_u16 v77, v1, s[64:67], 0 offen offset:2
	buffer_load_u16 v79, v1, s[64:67], 0 offen offset:4
	;; [unrolled: 1-line block ×3, first 2 shown]
	s_clause 0x1
	s_load_b32 s22, s[0:1], 0x2c
	s_load_b32 s71, s[0:1], 0x38
	s_clause 0x1
	buffer_load_u16 v80, v1, s[64:67], 0 offen offset:8
	buffer_load_u16 v81, v1, s[64:67], 0 offen offset:10
	v_mul_lo_u32 v67, v76, s21
	s_clause 0x2
	buffer_load_u16 v83, v1, s[64:67], 0 offen offset:12
	buffer_load_u16 v82, v1, s[64:67], 0 offen offset:14
	buffer_load_u16 v88, v1, s[64:67], 0 offen
	v_add_nc_u32_e32 v1, s3, v1
	s_load_b32 s0, s[0:1], 0x40
	v_cmp_gt_i32_e64 s15, s70, v75
	v_cmp_gt_i32_e64 s16, s70, v128
	;; [unrolled: 1-line block ×3, first 2 shown]
	v_add_nc_u32_e32 v3, 2, v1
	v_add_nc_u32_e32 v2, v67, v66
	s_clause 0x7
	buffer_load_u16 v87, v2, s[60:63], 0 offen
	buffer_load_u16 v86, v2, s[60:63], 0 offen offset:2
	buffer_load_u16 v84, v2, s[60:63], 0 offen offset:6
	;; [unrolled: 1-line block ×7, first 2 shown]
	v_add_nc_u32_e32 v4, 4, v1
	v_add_nc_u32_e32 v5, 14, v1
	buffer_load_u16 v126, v3, s[64:67], 0 offen
	s_waitcnt lgkmcnt(0)
	v_cmp_gt_i32_e64 s7, s71, v74
	v_cmp_gt_i32_e64 s9, s71, v75
	buffer_load_u16 v125, v4, s[64:67], 0 offen
	v_add_nc_u32_e32 v3, 12, v1
	v_add_nc_u32_e32 v4, 10, v1
	buffer_load_u16 v122, v5, s[64:67], 0 offen
	s_ashr_i32 s1, s0, 31
	v_cmp_gt_i32_e64 s10, s71, v128
	buffer_load_u16 v123, v3, s[64:67], 0 offen
	v_add_nc_u32_e32 v5, 8, v1
	v_add_nc_u32_e32 v3, 6, v1
	s_clause 0x1
	buffer_load_u16 v124, v4, s[64:67], 0 offen
	buffer_load_u16 v119, v5, s[64:67], 0 offen
	v_add_nc_u32_e32 v4, s3, v1
	s_clause 0x7
	buffer_load_u16 v120, v3, s[64:67], 0 offen
	buffer_load_u16 v117, v1, s[64:67], 0 offen
	;; [unrolled: 1-line block ×3, first 2 shown]
	buffer_load_u16 v113, v4, s[64:67], 0 offen offset:2
	buffer_load_u16 v112, v4, s[64:67], 0 offen offset:4
	;; [unrolled: 1-line block ×5, first 2 shown]
	v_add_nc_u32_e32 v1, s21, v2
	v_add_nc_u32_e32 v2, s3, v4
	s_clause 0x1
	buffer_load_u16 v109, v4, s[64:67], 0 offen offset:12
	buffer_load_u16 v107, v4, s[64:67], 0 offen offset:14
	buffer_load_u16 v106, v1, s[60:63], 0 offen
	s_lshr_b32 s1, s1, 27
	v_add_nc_u32_e32 v3, 2, v1
	v_add_nc_u32_e32 v4, 4, v1
	buffer_load_u16 v105, v2, s[64:67], 0 offen
	v_add_nc_u32_e32 v5, 10, v1
	v_add_nc_u32_e32 v6, 8, v1
	s_clause 0x1
	buffer_load_u16 v104, v3, s[60:63], 0 offen
	buffer_load_u16 v103, v4, s[60:63], 0 offen
	s_add_i32 s0, s0, s1
	buffer_load_u16 v101, v5, s[60:63], 0 offen
	v_add_nc_u32_e32 v3, 12, v1
	v_add_nc_u32_e32 v4, 6, v1
	;; [unrolled: 1-line block ×3, first 2 shown]
	s_clause 0x3
	buffer_load_u16 v102, v6, s[60:63], 0 offen
	buffer_load_u16 v100, v3, s[60:63], 0 offen
	;; [unrolled: 1-line block ×4, first 2 shown]
	v_add_nc_u32_e32 v1, 2, v2
	v_add_nc_u32_e32 v3, 4, v2
	;; [unrolled: 1-line block ×3, first 2 shown]
	s_clause 0x1
	buffer_load_u16 v97, v1, s[64:67], 0 offen
	buffer_load_u16 v96, v3, s[64:67], 0 offen
	v_add_nc_u32_e32 v1, 8, v2
	buffer_load_u16 v95, v4, s[64:67], 0 offen
	v_add_nc_u32_e32 v3, 12, v2
	v_cmp_gt_i32_e64 s11, s71, v129
	v_add_nc_u32_e32 v74, 1, v73
	buffer_load_u16 v92, v1, s[64:67], 0 offen
	v_add_nc_u32_e32 v4, 10, v2
	v_dual_mov_b32 v2, v49 :: v_dual_add_nc_u32 v1, 14, v2
	s_clause 0x2
	buffer_load_u16 v91, v3, s[64:67], 0 offen
	buffer_load_u16 v90, v4, s[64:67], 0 offen
	;; [unrolled: 1-line block ×3, first 2 shown]
	v_mov_b32_e32 v4, v49
	v_mov_b32_e32 v1, v49
	v_dual_mov_b32 v3, v49 :: v_dual_add_nc_u32 v128, 3, v73
	v_add_nc_u32_e32 v75, 2, v73
	v_cmp_gt_i32_e32 vcc_lo, s2, v73
	v_add_nc_u32_e32 v129, 1, v76
	s_ashr_i32 s0, s0, 5
	v_mul_lo_u32 v73, s3, v74
	s_add_i32 s0, s0, -1
	v_cmp_gt_i32_e64 s1, s2, v75
	s_max_i32 s73, s0, 1
	v_cmp_gt_i32_e64 s0, s2, v74
	v_mul_lo_u32 v74, s3, v128
	v_mul_lo_u32 v75, s3, v75
	v_cmp_gt_i32_e64 s3, s22, v76
	v_mul_lo_u32 v76, s21, v129
	s_and_b32 s21, s8, vcc_lo
	v_cmp_gt_i32_e64 s18, s70, v130
	v_cmp_gt_i32_e64 s19, s70, v131
	;; [unrolled: 1-line block ×10, first 2 shown]
	v_lshlrev_b32_e32 v70, 1, v70
	v_mov_b32_e32 v6, v49
	v_lshl_or_b32 v72, v93, 1, v72
	v_mov_b32_e32 v29, v49
	v_mov_b32_e32 v5, v49
	v_mad_u32_u24 v70, 0x82, v133, v70
	s_delay_alu instid0(VALU_DEP_4)
	v_add_nc_u32_e32 v94, 0x103e, v72
	v_add_nc_u32_e32 v72, 0x174c, v68
	s_waitcnt vmcnt(47)
	v_cndmask_b32_e64 v77, 0, v77, s21
	s_and_b32 s21, s15, vcc_lo
	s_waitcnt vmcnt(46)
	v_cndmask_b32_e64 v79, 0, v79, s21
	s_and_b32 s21, s16, vcc_lo
	v_lshrrev_b16 v128, 8, v77
	s_waitcnt vmcnt(45)
	v_cndmask_b32_e64 v78, 0, v78, s21
	s_and_b32 s21, s17, vcc_lo
	v_lshrrev_b16 v129, 8, v79
	;; [unrolled: 4-line block ×6, first 2 shown]
	s_waitcnt vmcnt(40)
	v_cndmask_b32_e64 v88, 0, v88, s21
	s_and_b32 s21, s5, s3
	s_and_b32 s5, s5, s4
	s_waitcnt vmcnt(39)
	v_cndmask_b32_e64 v87, 0, v87, s21
	s_and_b32 s21, s7, s3
	v_lshrrev_b16 v136, 8, v82
	s_waitcnt vmcnt(38)
	v_cndmask_b32_e64 v86, 0, v86, s21
	s_and_b32 s21, s10, s3
	s_waitcnt vmcnt(37)
	v_cndmask_b32_e64 v137, 0, v84, s21
	s_and_b32 s21, s9, s3
	ds_store_b16 v70, v86 offset:130
	s_waitcnt vmcnt(32)
	v_cndmask_b32_e64 v84, 0, v127, s21
	s_and_b32 s21, s11, s3
	s_delay_alu instid0(SALU_CYCLE_1) | instskip(SKIP_1) | instid1(SALU_CYCLE_1)
	v_cndmask_b32_e64 v121, 0, v121, s21
	s_and_b32 s21, s12, s3
	v_cndmask_b32_e64 v118, 0, v118, s21
	s_and_b32 s21, s13, s3
	s_delay_alu instid0(SALU_CYCLE_1)
	v_cndmask_b32_e64 v116, 0, v116, s21
	s_and_b32 s21, s14, s3
	s_waitcnt vmcnt(15)
	v_cndmask_b32_e64 v106, 0, v106, s5
	v_cndmask_b32_e64 v114, 0, v114, s21
	s_and_b32 s21, s8, s0
	s_and_b32 s5, s6, s2
	v_cndmask_b32_e64 v126, 0, v126, s21
	s_and_b32 s21, s15, s0
	v_perm_b32 v87, v106, v87, 0x5040100
	v_cndmask_b32_e64 v125, 0, v125, s21
	s_and_b32 s21, s20, s0
	v_lshrrev_b16 v140, 8, v126
	v_cndmask_b32_e64 v122, 0, v122, s21
	s_and_b32 s21, s19, s0
	v_perm_b32 v126, v126, v77, 0x5040100
	v_cndmask_b32_e64 v123, 0, v123, s21
	s_and_b32 s21, s18, s0
	v_lshrrev_b16 v141, 8, v125
	v_cndmask_b32_e64 v124, 0, v124, s21
	s_and_b32 s21, s17, s0
	v_perm_b32 v125, v125, v79, 0x5040100
	v_cndmask_b32_e64 v119, 0, v119, s21
	s_and_b32 s21, s16, s0
	v_perm_b32 v142, v122, v82, 0x5040100
	v_cndmask_b32_e64 v120, 0, v120, s21
	s_and_b32 s21, s6, s0
	v_lshrrev_b16 v79, 8, v122
	v_cndmask_b32_e64 v117, 0, v117, s21
	v_perm_b32 v122, v123, v83, 0x5040100
	v_perm_b32 v83, v119, v80, 0x5040100
	v_lshrrev_b16 v80, 8, v119
	v_perm_b32 v119, v120, v78, 0x5040100
	v_perm_b32 v77, v117, v88, 0x5040100
	s_waitcnt vmcnt(14)
	v_cndmask_b32_e64 v88, 0, v105, s5
	s_and_b32 s5, s7, s4
	v_lshrrev_b16 v78, 8, v120
	s_waitcnt vmcnt(13)
	v_cndmask_b32_e64 v104, 0, v104, s5
	s_and_b32 s5, s9, s4
	s_and_b32 s21, s6, s1
	s_waitcnt vmcnt(12)
	v_cndmask_b32_e64 v103, 0, v103, s5
	s_and_b32 s5, s12, s4
	v_lshrrev_b16 v82, 8, v123
	s_waitcnt vmcnt(11)
	v_cndmask_b32_e64 v101, 0, v101, s5
	s_and_b32 s5, s11, s4
	v_cndmask_b32_e64 v115, 0, v115, s21
	s_waitcnt vmcnt(10)
	v_cndmask_b32_e64 v102, 0, v102, s5
	s_and_b32 s5, s13, s4
	s_and_b32 s21, s8, s1
	s_waitcnt vmcnt(9)
	v_cndmask_b32_e64 v100, 0, v100, s5
	s_and_b32 s5, s14, s4
	v_cndmask_b32_e64 v113, 0, v113, s21
	s_waitcnt vmcnt(7)
	v_cndmask_b32_e64 v99, 0, v99, s5
	s_and_b32 s5, s10, s4
	s_and_b32 s21, s15, s1
	v_cndmask_b32_e64 v98, 0, v98, s5
	s_and_b32 s5, s8, s2
	v_perm_b32 v106, v140, v128, 0x5040100
	v_perm_b32 v128, v141, v129, 0x5040100
	;; [unrolled: 1-line block ×4, first 2 shown]
	s_waitcnt vmcnt(6)
	v_cndmask_b32_e64 v80, 0, v97, s5
	s_and_b32 s5, s15, s2
	v_cndmask_b32_e64 v112, 0, v112, s21
	s_and_b32 s21, s16, s1
	v_perm_b32 v131, v82, v135, 0x5040100
	s_waitcnt vmcnt(5)
	v_cndmask_b32_e64 v82, 0, v96, s5
	s_and_b32 s5, s16, s2
	v_cndmask_b32_e64 v111, 0, v111, s21
	s_and_b32 s21, s17, s1
	v_perm_b32 v78, v88, v115, 0x5040100
	s_waitcnt vmcnt(4)
	v_cndmask_b32_e64 v88, 0, v95, s5
	s_and_b32 s5, s17, s2
	v_cndmask_b32_e64 v110, 0, v110, s21
	s_and_b32 s21, s18, s1
	s_waitcnt vmcnt(3)
	v_cndmask_b32_e64 v92, 0, v92, s5
	s_and_b32 s5, s19, s2
	v_cndmask_b32_e64 v108, 0, v108, s21
	s_and_b32 s21, s19, s1
	;; [unrolled: 5-line block ×3, first 2 shown]
	s_waitcnt vmcnt(1)
	v_cndmask_b32_e64 v90, 0, v90, s5
	s_and_b32 s5, s20, s2
	v_cndmask_b32_e64 v107, 0, v107, s21
	s_waitcnt vmcnt(0)
	v_cndmask_b32_e64 v89, 0, v89, s5
	v_lshrrev_b16 v127, 8, v118
	v_perm_b32 v84, v103, v84, 0x5040100
	v_lshrrev_b16 v86, 8, v101
	v_lshrrev_b16 v138, 8, v116
	;; [unrolled: 1-line block ×3, first 2 shown]
	v_perm_b32 v123, v124, v81, 0x5040100
	v_lshrrev_b16 v81, 8, v124
	v_lshrrev_b16 v105, 8, v111
	;; [unrolled: 1-line block ×6, first 2 shown]
	v_perm_b32 v95, v102, v121, 0x5040100
	v_perm_b32 v96, v101, v118, 0x5040100
	;; [unrolled: 1-line block ×3, first 2 shown]
	v_lshrrev_b16 v100, 8, v100
	v_perm_b32 v101, v99, v114, 0x5040100
	v_lshrrev_b16 v99, 8, v99
	v_pk_lshlrev_b16 v102, 8, v106 op_sel_hi:[0,1]
	v_perm_b32 v106, v88, v111, 0x5040100
	v_lshrrev_b16 v88, 8, v88
	v_perm_b32 v110, v92, v110, 0x5040100
	v_lshrrev_b16 v92, 8, v92
	;; [unrolled: 2-line block ×5, first 2 shown]
	ds_store_2addr_b32 v70, v87, v84 offset1:65
	v_perm_b32 v84, v86, v127, 0x5040100
	v_perm_b32 v81, v81, v132, 0x5040100
	;; [unrolled: 1-line block ×10, first 2 shown]
	v_pk_lshlrev_b16 v84, 8, v84 op_sel_hi:[0,1]
	v_pk_lshlrev_b16 v103, 8, v128 op_sel_hi:[0,1]
	v_perm_b32 v80, v80, v113, 0x5040100
	v_perm_b32 v82, v82, v112, 0x5040100
	v_pk_lshlrev_b16 v111, 8, v129 op_sel_hi:[0,1]
	v_pk_lshlrev_b16 v112, 8, v130 op_sel_hi:[0,1]
	;; [unrolled: 1-line block ×12, first 2 shown]
	v_and_or_b32 v96, 0xff00ff, v96, v84
	v_and_or_b32 v79, 0xff00ff, v126, v102
	;; [unrolled: 1-line block ×15, first 2 shown]
	ds_store_b16 v70, v104 offset:132
	ds_store_b16 v70, v137 offset:390
	;; [unrolled: 1-line block ×3, first 2 shown]
	ds_store_b32 v70, v95 offset:520
	ds_store_b32 v70, v96 offset:650
	;; [unrolled: 1-line block ×4, first 2 shown]
	ds_store_b64 v68, v[77:78] offset:4158
	ds_store_b64 v68, v[79:80] offset:4416
	ds_store_b64 v68, v[81:82] offset:4674
	ds_store_b64 v68, v[83:84] offset:5190
	ds_store_b64 v68, v[86:87] offset:5448
	ds_store_b64 v68, v[88:89] offset:5706
	ds_store_2addr_b32 v71, v102, v90 offset1:1
	ds_store_2addr_b32 v72, v103, v91 offset1:1
.LBB1_1:                                ; =>This Inner Loop Header: Depth=1
	v_add_nc_u32_e32 v77, v66, v67
	v_add_nc_u32_e32 v78, v66, v76
	;; [unrolled: 1-line block ×5, first 2 shown]
	s_clause 0xf
	buffer_load_u16 v92, v77, s[60:63], 0 offen offset:64
	buffer_load_u16 v131, v77, s[60:63], 0 offen offset:66
	;; [unrolled: 1-line block ×16, first 2 shown]
	s_waitcnt vmcnt(0) lgkmcnt(0)
	s_barrier
	ds_load_u16 v87, v94 offset:580
	ds_load_u16 v98, v94 offset:1548
	;; [unrolled: 1-line block ×7, first 2 shown]
	ds_load_u16 v107, v134
	ds_load_u16 v109, v134 offset:520
	ds_load_u16 v110, v134 offset:780
	;; [unrolled: 1-line block ×21, first 2 shown]
	ds_load_u16 v95, v94
	ds_load_u16 v91, v134 offset:3964
	ds_load_u16 v140, v94 offset:2644
	;; [unrolled: 1-line block ×16, first 2 shown]
	v_add_nc_u32_e32 v83, v66, v74
	s_waitcnt lgkmcnt(32)
	ds_load_u16_d16_hi v118, v134 offset:974
	ds_load_u16_d16_hi v111, v134 offset:1170
	ds_load_u16_d16_hi v112, v134 offset:1430
	ds_load_u16 v108, v134 offset:260
	ds_load_u16 v115, v134 offset:64
	ds_load_u16_d16_hi v107, v134 offset:130
	ds_load_u16_d16_hi v109, v134 offset:650
	s_waitcnt lgkmcnt(22)
	ds_load_u16_d16_hi v91, v134 offset:4094
	ds_load_u16_d16_hi v99, v94 offset:386
	;; [unrolled: 1-line block ×3, first 2 shown]
	ds_load_u16 v86, v94 offset:64
	ds_load_u16_d16_hi v96, v94 offset:774
	ds_load_u16_d16_hi v87, v94 offset:838
	;; [unrolled: 1-line block ×12, first 2 shown]
	ds_load_u16 v139, v94 offset:2128
	ds_load_u16 v151, v94 offset:2256
	;; [unrolled: 1-line block ×4, first 2 shown]
	ds_load_u16_d16_hi v127, v94 offset:2322
	ds_load_u16_d16_hi v106, v94 offset:1998
	;; [unrolled: 1-line block ×3, first 2 shown]
	ds_load_u16 v137, v134 offset:3640
	ds_load_u16_d16_hi v138, v134 offset:4030
	s_waitcnt lgkmcnt(28)
	ds_load_u16_d16_hi v108, v134 offset:390
	s_waitcnt lgkmcnt(22)
	ds_load_u16_d16_hi v86, v94 offset:322
	ds_load_u16_d16_hi v115, v134 offset:194
	;; [unrolled: 1-line block ×4, first 2 shown]
	v_add_nc_u32_e32 v80, s72, v66
	v_add_nc_u32_e32 v65, 64, v65
	v_add_nc_u32_e32 v73, 64, v73
	v_add_nc_u32_e32 v74, 64, v74
	v_add_nc_u32_e32 v75, 64, v75
	v_add_nc_u32_e32 v78, 64, v80
	v_add_nc_u32_e32 v67, 64, v67
	v_add_nc_u32_e32 v76, 64, v76
	s_add_i32 s73, s73, -1
	s_add_i32 s72, s72, 64
	v_cmp_gt_i32_e64 s5, s70, v78
	v_cmp_gt_i32_e64 s6, s71, v78
	v_add_nc_u32_e32 v78, 0x48, v80
	s_waitcnt lgkmcnt(4)
	v_wmma_i32_16x16x16_iu8 v[49:56], v[107:110], v[95:98], v[49:56] neg_lo:[1,1,0]
	s_waitcnt lgkmcnt(3)
	v_wmma_i32_16x16x16_iu8 v[33:40], v[107:110], v[86:89], v[33:40] neg_lo:[1,1,0]
	v_wmma_i32_16x16x16_iu8 v[17:24], v[107:110], v[99:102], v[17:24] neg_lo:[1,1,0]
	;; [unrolled: 1-line block ×3, first 2 shown]
	ds_load_u16 v107, v94 offset:4772
	ds_load_u16 v108, v94 offset:5288
	s_waitcnt lgkmcnt(2)
	v_wmma_i32_16x16x16_iu8 v[1:8], v[115:118], v[95:98], v[1:8] neg_lo:[1,1,0]
	ds_load_u16 v97, v94 offset:5160
	ds_load_u16 v109, v94 offset:5804
	s_clause 0x1
	buffer_load_u16 v168, v79, s[64:67], 0 offen offset:64
	buffer_load_u16 v169, v79, s[64:67], 0 offen offset:66
	v_wmma_i32_16x16x16_iu8 v[9:16], v[115:118], v[86:89], v[9:16] neg_lo:[1,1,0]
	s_clause 0x3
	buffer_load_u16 v86, v79, s[64:67], 0 offen offset:68
	buffer_load_u16 v87, v79, s[64:67], 0 offen offset:70
	buffer_load_u16 v170, v79, s[64:67], 0 offen offset:72
	buffer_load_u16 v171, v79, s[64:67], 0 offen offset:74
	v_wmma_i32_16x16x16_iu8 v[41:48], v[115:118], v[99:102], v[41:48] neg_lo:[1,1,0]
	s_clause 0x3
	buffer_load_u16 v172, v79, s[64:67], 0 offen offset:76
	buffer_load_u16 v173, v81, s[64:67], 0 offen offset:64
	;; [unrolled: 6-line block ×3, first 2 shown]
	buffer_load_u16 v117, v81, s[64:67], 0 offen offset:74
	buffer_load_u16 v118, v81, s[64:67], 0 offen offset:76
	;; [unrolled: 1-line block ×6, first 2 shown]
	ds_load_u16_d16_hi v123, v94 offset:2450
	ds_load_u16_d16_hi v125, v94 offset:3482
	;; [unrolled: 1-line block ×3, first 2 shown]
	ds_load_u16 v95, v94 offset:4128
	ds_load_u16 v106, v94 offset:4256
	ds_load_u16_d16_hi v119, v134 offset:1234
	ds_load_u16_d16_hi v120, v134 offset:1494
	ds_load_u16 v122, v134 offset:1884
	ds_load_u16_d16_hi v113, v134 offset:1690
	ds_load_u16 v121, v134 offset:1624
	ds_load_u16_d16_hi v114, v134 offset:1950
	ds_load_u16_d16_hi v143, v134 offset:2210
	;; [unrolled: 1-line block ×3, first 2 shown]
	ds_load_u16 v154, v94 offset:3804
	ds_load_u16 v142, v94 offset:3676
	ds_load_u16_d16_hi v124, v94 offset:2966
	ds_load_u16 v152, v94 offset:2772
	ds_load_u16 v141, v94 offset:3160
	;; [unrolled: 1-line block ×3, first 2 shown]
	ds_load_u16_d16_hi v128, v94 offset:2838
	ds_load_u16_d16_hi v129, v94 offset:3354
	v_cmp_gt_i32_e64 s9, s71, v78
	v_cmp_gt_i32_e64 s10, s70, v78
	v_add_nc_u32_e32 v78, 0x42, v80
	s_and_b32 s21, s0, s5
	s_waitcnt lgkmcnt(13)
	ds_load_u16_d16_hi v122, v134 offset:2014
	s_waitcnt lgkmcnt(12)
	ds_load_u16_d16_hi v121, v134 offset:1754
	ds_load_u16_d16_hi v139, v94 offset:2386
	;; [unrolled: 1-line block ×4, first 2 shown]
	ds_load_u16 v96, v94 offset:4644
	s_waitcnt lgkmcnt(10)
	ds_load_u16_d16_hi v152, v94 offset:3030
	s_waitcnt lgkmcnt(10)
	ds_load_u16_d16_hi v141, v94 offset:3418
	;; [unrolled: 2-line block ×3, first 2 shown]
	ds_load_u16_d16_hi v142, v94 offset:3934
	ds_load_u16_d16_hi v154, v94 offset:4062
	ds_load_u16 v77, v94 offset:4192
	s_waitcnt lgkmcnt(12)
	v_wmma_i32_16x16x16_iu8 v[49:56], v[111:114], v[127:130], v[49:56] neg_lo:[1,1,0]
	v_wmma_i32_16x16x16_iu8 v[17:24], v[111:114], v[123:126], v[17:24] neg_lo:[1,1,0]
	ds_load_u16 v99, v94 offset:4320
	ds_load_u16_d16_hi v95, v94 offset:4386
	v_cmp_gt_i32_e64 s13, s70, v78
	v_cmp_gt_i32_e64 s14, s71, v78
	v_add_nc_u32_e32 v78, 0x46, v80
	s_and_b32 s22, s1, s5
	s_and_b32 s23, s2, s5
	s_and_b32 s5, vcc_lo, s5
	s_waitcnt lgkmcnt(12)
	v_wmma_i32_16x16x16_iu8 v[1:8], v[119:122], v[127:130], v[1:8] neg_lo:[1,1,0]
	v_wmma_i32_16x16x16_iu8 v[41:48], v[119:122], v[123:126], v[41:48] neg_lo:[1,1,0]
	v_cmp_gt_i32_e64 s17, s71, v78
	v_cmp_gt_i32_e64 s19, s70, v78
	s_and_b32 s24, s4, s6
	s_and_b32 s6, s3, s6
	;; [unrolled: 1-line block ×4, first 2 shown]
	s_waitcnt lgkmcnt(4)
	v_wmma_i32_16x16x16_iu8 v[33:40], v[111:114], v[139:142], v[33:40] neg_lo:[1,1,0]
	s_waitcnt lgkmcnt(3)
	v_wmma_i32_16x16x16_iu8 v[25:32], v[111:114], v[151:154], v[25:32] neg_lo:[1,1,0]
	s_clause 0x7
	buffer_load_u16 v114, v82, s[64:67], 0 offen offset:74
	buffer_load_u16 v123, v82, s[64:67], 0 offen offset:76
	;; [unrolled: 1-line block ×8, first 2 shown]
	ds_load_u16_d16_hi v146, v134 offset:2990
	ds_load_u16_d16_hi v149, v134 offset:2794
	;; [unrolled: 1-line block ×5, first 2 shown]
	ds_load_u16 v103, v94 offset:6192
	ds_load_u16 v110, v94 offset:6320
	ds_load_u16_d16_hi v150, v134 offset:3054
	ds_load_u16 v88, v134 offset:3184
	ds_load_u16_d16_hi v135, v134 offset:3250
	ds_load_u16_d16_hi v148, v134 offset:2534
	;; [unrolled: 1-line block ×8, first 2 shown]
	v_wmma_i32_16x16x16_iu8 v[9:16], v[119:122], v[139:142], v[9:16] neg_lo:[1,1,0]
	v_wmma_i32_16x16x16_iu8 v[57:64], v[119:122], v[151:154], v[57:64] neg_lo:[1,1,0]
	s_and_b32 s28, s0, s13
	s_and_b32 s29, vcc_lo, s13
	s_and_b32 s30, s2, s13
	s_and_b32 s13, s1, s13
	;; [unrolled: 1-line block ×3, first 2 shown]
	s_and_b32 s36, vcc_lo, s10
	s_and_b32 s37, s2, s10
	s_and_b32 s10, s1, s10
	;; [unrolled: 1-line block ×8, first 2 shown]
	s_and_b32 s19, vcc_lo, s19
	s_and_b32 s17, s4, s17
	s_waitcnt lgkmcnt(3)
	v_wmma_i32_16x16x16_iu8 v[17:24], v[143:146], v[106:109], v[17:24] neg_lo:[1,1,0]
	s_waitcnt lgkmcnt(2)
	v_wmma_i32_16x16x16_iu8 v[41:48], v[147:150], v[106:109], v[41:48] neg_lo:[1,1,0]
	s_clause 0x5
	buffer_load_u16 v107, v82, s[64:67], 0 offen offset:70
	buffer_load_u16 v108, v79, s[64:67], 0 offen offset:78
	;; [unrolled: 1-line block ×6, first 2 shown]
	ds_load_u16 v98, v94 offset:5676
	ds_load_u16 v136, v134 offset:3380
	;; [unrolled: 1-line block ×7, first 2 shown]
	v_add_nc_u32_e32 v79, 0x44, v80
	ds_load_u16 v89, v134 offset:3444
	v_cmp_gt_i32_e64 s7, s71, v79
	v_cmp_gt_i32_e64 s8, s70, v79
	v_add_nc_u32_e32 v79, 0x4c, v80
	s_delay_alu instid0(VALU_DEP_3) | instskip(SKIP_1) | instid1(VALU_DEP_1)
	s_and_b32 s25, s4, s7
	s_and_b32 s7, s3, s7
	v_cmp_gt_i32_e64 s11, s71, v79
	v_cmp_gt_i32_e64 s12, s70, v79
	v_add_nc_u32_e32 v79, 0x4a, v80
	v_add_nc_u32_e32 v80, 0x4e, v80
	s_and_b32 s31, s0, s8
	s_and_b32 s27, s4, s11
	s_and_b32 s11, s3, s11
	v_cmp_gt_i32_e64 s15, s70, v79
	v_cmp_gt_i32_e64 s18, s71, v80
	;; [unrolled: 1-line block ×3, first 2 shown]
	s_waitcnt lgkmcnt(7)
	ds_load_u16_d16_hi v98, v94 offset:5934
	ds_load_u16 v102, v94 offset:5868
	ds_load_u16 v80, v94 offset:5740
	s_waitcnt lgkmcnt(7)
	ds_load_u16_d16_hi v112, v94 offset:7610
	s_waitcnt lgkmcnt(6)
	ds_load_u16_d16_hi v113, v94 offset:8126
	;; [unrolled: 2-line block ×3, first 2 shown]
	ds_load_u16 v101, v94 offset:5352
	ds_load_u16 v100, v94 offset:4836
	ds_load_u16 v84, v94 offset:7932
	ds_load_u16_d16_hi v136, v134 offset:3510
	ds_load_u16_d16_hi v110, v94 offset:6578
	ds_load_u16 v104, v94 offset:6708
	ds_load_u16_d16_hi v111, v94 offset:7094
	ds_load_u16_d16_hi v88, v134 offset:3314
	;; [unrolled: 1-line block ×4, first 2 shown]
	s_waitcnt lgkmcnt(16)
	ds_load_u16_d16_hi v89, v134 offset:3574
	ds_load_u16_d16_hi v105, v94 offset:7482
	v_cmp_gt_i32_e64 s16, s71, v79
	s_waitcnt lgkmcnt(6)
	ds_load_u16_d16_hi v104, v94 offset:6966
	ds_load_u16_d16_hi v103, v94 offset:6450
	v_wmma_i32_16x16x16_iu8 v[49:56], v[143:146], v[95:98], v[49:56] neg_lo:[1,1,0]
	v_wmma_i32_16x16x16_iu8 v[1:8], v[147:150], v[95:98], v[1:8] neg_lo:[1,1,0]
	ds_load_u16 v98, v94 offset:7804
	ds_load_u16 v79, v94 offset:5224
	;; [unrolled: 1-line block ×9, first 2 shown]
	ds_load_u16_d16_hi v77, v94 offset:4450
	ds_load_u16_d16_hi v99, v94 offset:4578
	s_waitcnt lgkmcnt(6)
	ds_load_u16_d16_hi v78, v94 offset:4966
	ds_load_u16_d16_hi v100, v94 offset:5094
	;; [unrolled: 1-line block ×6, first 2 shown]
	s_waitcnt lgkmcnt(9)
	ds_load_u16_d16_hi v95, v94 offset:6514
	s_waitcnt lgkmcnt(9)
	ds_load_u16_d16_hi v81, v94 offset:6642
	ds_load_u16_d16_hi v96, v94 offset:7030
	;; [unrolled: 1-line block ×7, first 2 shown]
	s_and_b32 s33, vcc_lo, s8
	s_and_b32 s34, s2, s8
	s_and_b32 s8, s1, s8
	;; [unrolled: 1-line block ×5, first 2 shown]
	s_and_b32 s15, vcc_lo, s15
	s_and_b32 s47, s4, s18
	s_and_b32 s18, s3, s18
	;; [unrolled: 1-line block ×3, first 2 shown]
	s_waitcnt lgkmcnt(9)
	v_wmma_i32_16x16x16_iu8 v[33:40], v[143:146], v[77:80], v[33:40] neg_lo:[1,1,0]
	s_waitcnt lgkmcnt(8)
	v_wmma_i32_16x16x16_iu8 v[25:32], v[143:146], v[99:102], v[25:32] neg_lo:[1,1,0]
	v_wmma_i32_16x16x16_iu8 v[9:16], v[147:150], v[77:80], v[9:16] neg_lo:[1,1,0]
	;; [unrolled: 1-line block ×7, first 2 shown]
	s_waitcnt lgkmcnt(1)
	v_wmma_i32_16x16x16_iu8 v[33:40], v[135:138], v[95:98], v[33:40] neg_lo:[1,1,0]
	s_waitcnt lgkmcnt(0)
	v_wmma_i32_16x16x16_iu8 v[25:32], v[135:138], v[81:84], v[25:32] neg_lo:[1,1,0]
	v_wmma_i32_16x16x16_iu8 v[9:16], v[88:91], v[95:98], v[9:16] neg_lo:[1,1,0]
	;; [unrolled: 1-line block ×3, first 2 shown]
	s_and_b32 s42, vcc_lo, s12
	s_and_b32 s43, s2, s12
	s_and_b32 s12, s1, s12
	;; [unrolled: 1-line block ×5, first 2 shown]
	s_and_b32 s20, vcc_lo, s20
	s_and_b32 s46, s3, s16
	s_waitcnt vmcnt(0) lgkmcnt(0)
	s_barrier
	s_and_b32 s16, s4, s16
	s_cmp_lg_u32 s73, 0
	v_cndmask_b32_e64 v81, 0, v92, s6
	v_cndmask_b32_e64 v83, 0, v132, s7
	;; [unrolled: 1-line block ×29, first 2 shown]
	v_perm_b32 v77, v80, v77, 0x5040100
	ds_store_b16 v70, v117 offset:132
	ds_store_b16 v70, v118 offset:130
	;; [unrolled: 1-line block ×3, first 2 shown]
	v_cndmask_b32_e64 v105, 0, v114, s39
	v_cndmask_b32_e64 v100, 0, v126, s34
	;; [unrolled: 1-line block ×11, first 2 shown]
	v_perm_b32 v78, v79, v78, 0x5040100
	v_perm_b32 v79, v82, v81, 0x5040100
	;; [unrolled: 1-line block ×5, first 2 shown]
	v_lshrrev_b16 v88, 8, v92
	v_perm_b32 v89, v95, v92, 0x5040100
	v_lshrrev_b16 v90, 8, v95
	v_perm_b32 v80, v97, v96, 0x5040100
	;; [unrolled: 2-line block ×3, first 2 shown]
	v_cndmask_b32_e64 v107, 0, v107, s49
	v_cndmask_b32_e64 v108, 0, v108, s20
	;; [unrolled: 1-line block ×6, first 2 shown]
	v_lshrrev_b16 v92, 8, v98
	v_perm_b32 v82, v100, v99, 0x5040100
	v_lshrrev_b16 v95, 8, v101
	v_perm_b32 v96, v102, v101, 0x5040100
	v_lshrrev_b16 v97, 8, v102
	v_lshrrev_b16 v98, 8, v103
	v_perm_b32 v99, v104, v103, 0x5040100
	v_lshrrev_b16 v100, 8, v104
	v_perm_b32 v102, v106, v105, 0x5040100
	v_lshrrev_b16 v103, 8, v106
	v_lshrrev_b16 v104, 8, v110
	v_lshrrev_b16 v106, 8, v111
	v_lshrrev_b16 v117, 8, v125
	v_lshrrev_b16 v122, 8, v126
	v_cndmask_b32_e64 v124, 0, v157, s46
	v_lshrrev_b16 v101, 8, v105
	v_perm_b32 v105, v111, v110, 0x5040100
	v_lshrrev_b16 v110, 8, v112
	v_perm_b32 v111, v113, v112, 0x5040100
	v_lshrrev_b16 v112, 8, v113
	v_lshrrev_b16 v113, 8, v114
	v_perm_b32 v114, v116, v114, 0x5040100
	v_lshrrev_b16 v116, 8, v116
	v_perm_b32 v118, v126, v125, 0x5040100
	v_perm_b32 v107, v121, v107, 0x5040100
	v_lshrrev_b16 v121, 8, v87
	v_perm_b32 v125, v115, v87, 0x5040100
	v_lshrrev_b16 v87, 8, v115
	v_lshrrev_b16 v115, 8, v119
	v_perm_b32 v119, v120, v119, 0x5040100
	v_lshrrev_b16 v120, 8, v120
	;; [unrolled: 3-line block ×3, first 2 shown]
	ds_store_b16 v70, v123 offset:392
	ds_store_b16 v70, v124 offset:650
	ds_store_2addr_b32 v70, v79, v81 offset1:65
	ds_store_2addr_b32 v70, v83, v84 offset0:130 offset1:195
	v_perm_b32 v79, v90, v88, 0x5040100
	v_perm_b32 v81, v92, v91, 0x5040100
	;; [unrolled: 1-line block ×12, first 2 shown]
	v_pk_lshlrev_b16 v81, 8, v81 op_sel_hi:[0,1]
	v_pk_lshlrev_b16 v90, 8, v90 op_sel_hi:[0,1]
	;; [unrolled: 1-line block ×4, first 2 shown]
	v_cndmask_b32_e64 v127, 0, v165, s16
	v_pk_lshlrev_b16 v83, 8, v83 op_sel_hi:[0,1]
	v_pk_lshlrev_b16 v84, 8, v84 op_sel_hi:[0,1]
	;; [unrolled: 1-line block ×8, first 2 shown]
	v_and_or_b32 v81, 0xff00ff, v86, v81
	v_and_or_b32 v86, 0xff00ff, v105, v90
	;; [unrolled: 1-line block ×12, first 2 shown]
	ds_store_b16 v70, v127 offset:652
	ds_store_b32 v70, v90 offset:910
	ds_store_b64 v68, v[77:78] offset:4158
	ds_store_b64 v68, v[79:80] offset:4416
	;; [unrolled: 1-line block ×6, first 2 shown]
	ds_store_2addr_b32 v71, v91, v107 offset1:1
	ds_store_2addr_b32 v72, v95, v92 offset1:1
	s_cbranch_scc1 .LBB1_1
; %bb.2:
	s_waitcnt lgkmcnt(0)
	s_barrier
	ds_load_u16 v70, v94 offset:580
	ds_load_u16 v66, v94 offset:516
	;; [unrolled: 1-line block ×14, first 2 shown]
	ds_load_u16 v65, v94
	ds_load_u16 v96, v134 offset:3964
	ds_load_u16 v113, v94 offset:128
	;; [unrolled: 1-line block ×13, first 2 shown]
	v_lshlrev_b32_e32 v69, 4, v69
	v_and_b32_e32 v97, 8, v85
	v_and_b32_e32 v85, 16, v85
	v_bfe_u32 v164, v0, 2, 5
	s_lshl_b32 s4, s55, 5
	ds_load_u16 v103, v94 offset:7288
	ds_load_u16 v104, v94 offset:7804
	;; [unrolled: 1-line block ×3, first 2 shown]
	s_waitcnt lgkmcnt(29)
	ds_load_u16_d16_hi v66, v94 offset:774
	ds_load_u16 v95, v134 offset:3704
	s_waitcnt lgkmcnt(17)
	ds_load_u16_d16_hi v96, v134 offset:4094
	s_waitcnt lgkmcnt(17)
	ds_load_u16_d16_hi v113, v94 offset:386
	ds_load_u16_d16_hi v70, v94 offset:838
	ds_load_u16 v71, v94 offset:1096
	ds_load_u16 v83, v94 offset:1224
	s_waitcnt lgkmcnt(18)
	ds_load_u16_d16_hi v67, v94 offset:1290
	s_waitcnt lgkmcnt(18)
	ds_load_u16_d16_hi v115, v94 offset:1418
	ds_load_u16 v72, v94 offset:1612
	ds_load_u16 v84, v94 offset:1740
	s_waitcnt lgkmcnt(17)
	ds_load_u16_d16_hi v68, v94 offset:1806
	ds_load_u16_d16_hi v116, v94 offset:1934
	ds_load_u16 v77, v94 offset:2128
	ds_load_u16 v74, v94 offset:2580
	ds_load_u16_d16_hi v89, v94 offset:2450
	ds_load_u16_d16_hi v73, v94 offset:2322
	ds_load_u16 v135, v94 offset:2256
	ds_load_u16 v106, v94 offset:6708
	;; [unrolled: 1-line block ×3, first 2 shown]
	v_and_or_b32 v97, v69, 16, v97
	ds_load_u16 v142, v134 offset:3900
	ds_load_u16_d16_hi v65, v94 offset:258
	ds_load_u16 v69, v94 offset:64
	ds_load_u16 v107, v94 offset:7224
	;; [unrolled: 1-line block ×3, first 2 shown]
	v_lshlrev_b32_e32 v100, 5, v97
	ds_load_u16 v97, v94 offset:4128
	ds_load_u16 v109, v94 offset:4256
	;; [unrolled: 1-line block ×4, first 2 shown]
	v_or3_b32 v163, v100, v85, v93
	ds_load_u16_d16_hi v90, v94 offset:2966
	s_waitcnt lgkmcnt(15)
	ds_load_u16_d16_hi v74, v94 offset:2838
	ds_load_u16 v136, v94 offset:2772
	ds_load_u16_d16_hi v77, v94 offset:2386
	s_waitcnt lgkmcnt(15)
	ds_load_u16_d16_hi v135, v94 offset:2514
	ds_load_u16_d16_hi v78, v94 offset:2902
	ds_load_u16 v140, v134 offset:3380
	ds_load_u16 v141, v134 offset:3640
	s_waitcnt lgkmcnt(16)
	ds_load_u16_d16_hi v142, v134 offset:4030
	ds_load_u16 v114, v94 offset:644
	ds_load_u16_d16_hi v81, v94 offset:450
	s_waitcnt lgkmcnt(17)
	ds_load_u16_d16_hi v69, v94 offset:322
	ds_load_u16_d16_hi v91, v94 offset:3482
	;; [unrolled: 1-line block ×3, first 2 shown]
	ds_load_u16 v137, v94 offset:3288
	ds_load_u16 v112, v94 offset:5804
	ds_load_u16 v100, v94 offset:5676
	ds_load_u16 v105, v94 offset:6192
	ds_load_u16 v121, v94 offset:6320
	ds_load_u16_d16_hi v92, v94 offset:3998
	ds_load_u16_d16_hi v76, v94 offset:3870
	ds_load_u16 v138, v94 offset:3804
	s_waitcnt lgkmcnt(24)
	ds_load_u16_d16_hi v109, v94 offset:4514
	ds_load_u16_d16_hi v110, v94 offset:5030
	;; [unrolled: 1-line block ×3, first 2 shown]
	ds_load_u16 v144, v94 offset:4836
	ds_load_u16_d16_hi v111, v94 offset:5546
	ds_load_u16_d16_hi v99, v94 offset:5418
	ds_load_u16 v145, v94 offset:5352
	v_lshlrev_b32_e32 v163, 2, v163
	s_waitcnt lgkmcnt(19)
	ds_load_u16_d16_hi v114, v94 offset:902
	ds_load_u16_d16_hi v82, v94 offset:966
	;; [unrolled: 1-line block ×6, first 2 shown]
	s_waitcnt lgkmcnt(19)
	ds_load_u16_d16_hi v112, v94 offset:6062
	s_waitcnt lgkmcnt(19)
	ds_load_u16_d16_hi v100, v94 offset:5934
	ds_load_u16 v146, v94 offset:5868
	s_waitcnt lgkmcnt(19)
	ds_load_u16_d16_hi v121, v94 offset:6578
	ds_load_u16 v85, v94 offset:4192
	ds_load_u16_d16_hi v97, v94 offset:4386
	ds_load_u16 v143, v94 offset:4320
	ds_load_u16_d16_hi v123, v94 offset:7610
	ds_load_u16_d16_hi v122, v94 offset:7094
	;; [unrolled: 1-line block ×3, first 2 shown]
	ds_load_u16 v148, v94 offset:6900
	ds_load_u16_d16_hi v107, v94 offset:7482
	ds_load_u16 v149, v94 offset:7416
	ds_load_u16 v101, v94 offset:6256
	ds_load_u16_d16_hi v105, v94 offset:6450
	ds_load_u16 v147, v94 offset:6384
	ds_load_u16 v152, v134 offset:1300
	;; [unrolled: 1-line block ×4, first 2 shown]
	ds_load_u16_d16_hi v124, v94 offset:8126
	ds_load_u16_d16_hi v108, v94 offset:7998
	ds_load_u16 v150, v94 offset:7932
	ds_load_u16_d16_hi v136, v94 offset:3030
	ds_load_u16_d16_hi v79, v94 offset:3418
	ds_load_u16_d16_hi v137, v94 offset:3546
	ds_load_u16_d16_hi v80, v94 offset:3934
	s_waitcnt lgkmcnt(39)
	ds_load_u16_d16_hi v138, v94 offset:4062
	s_waitcnt lgkmcnt(22)
	ds_load_u16_d16_hi v85, v94 offset:4450
	;; [unrolled: 2-line block ×3, first 2 shown]
	ds_load_u16_d16_hi v86, v94 offset:4966
	ds_load_u16_d16_hi v144, v94 offset:5094
	;; [unrolled: 1-line block ×6, first 2 shown]
	ds_load_u16 v155, v134
	ds_load_u16 v119, v134 offset:584
	ds_load_u16 v158, v134 offset:780
	s_waitcnt lgkmcnt(19)
	ds_load_u16_d16_hi v120, v134 offset:974
	ds_load_u16_d16_hi v151, v134 offset:1170
	;; [unrolled: 1-line block ×3, first 2 shown]
	ds_load_u16 v157, v134 offset:520
	ds_load_u16 v156, v134 offset:260
	ds_load_u16_d16_hi v101, v94 offset:6514
	ds_load_u16_d16_hi v147, v94 offset:6642
	;; [unrolled: 1-line block ×3, first 2 shown]
	ds_load_u16 v153, v134 offset:1560
	ds_load_u16_d16_hi v148, v94 offset:7158
	ds_load_u16_d16_hi v103, v94 offset:7546
	;; [unrolled: 1-line block ×3, first 2 shown]
	ds_load_u16 v154, v134 offset:1820
	ds_load_u16_d16_hi v104, v94 offset:8062
	s_waitcnt lgkmcnt(30)
	ds_load_u16_d16_hi v150, v94 offset:8190
	ds_load_u16 v159, v134 offset:2080
	ds_load_u16 v160, v134 offset:2340
	;; [unrolled: 1-line block ×8, first 2 shown]
	s_waitcnt lgkmcnt(25)
	ds_load_u16_d16_hi v155, v134 offset:130
	s_waitcnt lgkmcnt(19)
	ds_load_u16_d16_hi v156, v134 offset:390
	ds_load_u16 v118, v134 offset:324
	ds_load_u16_d16_hi v157, v134 offset:650
	ds_load_u16_d16_hi v158, v134 offset:910
	s_waitcnt lgkmcnt(19)
	ds_load_u16_d16_hi v153, v134 offset:1690
	ds_load_u16 v131, v134 offset:1624
	ds_load_u16 v128, v134 offset:2924
	;; [unrolled: 1-line block ×4, first 2 shown]
	s_waitcnt lgkmcnt(20)
	ds_load_u16_d16_hi v154, v134 offset:1950
	ds_load_u16 v126, v134 offset:2404
	s_waitcnt lgkmcnt(19)
	ds_load_u16_d16_hi v159, v134 offset:2210
	s_waitcnt lgkmcnt(19)
	ds_load_u16_d16_hi v160, v134 offset:2470
	s_waitcnt lgkmcnt(19)
	ds_load_u16_d16_hi v161, v134 offset:2730
	s_waitcnt lgkmcnt(19)
	ds_load_u16_d16_hi v162, v134 offset:2990
	s_waitcnt lgkmcnt(19)
	ds_load_u16_d16_hi v139, v134 offset:3250
	ds_load_u16 v93, v134 offset:3184
	ds_load_u16_d16_hi v140, v134 offset:3510
	ds_load_u16 v94, v134 offset:3444
	ds_load_u16_d16_hi v141, v134 offset:3770
	ds_load_u16 v129, v134 offset:1104
	s_waitcnt lgkmcnt(24)
	ds_load_u16_d16_hi v117, v134 offset:194
	ds_load_u16_d16_hi v119, v134 offset:714
	s_waitcnt lgkmcnt(19)
	v_wmma_i32_16x16x16_iu8 v[49:56], v[155:158], v[65:68], v[49:56] neg_lo:[1,1,0]
	ds_load_u16_d16_hi v118, v134 offset:454
	ds_load_u16_d16_hi v130, v134 offset:1494
	;; [unrolled: 1-line block ×3, first 2 shown]
	s_waitcnt lgkmcnt(20)
	ds_load_u16_d16_hi v131, v134 offset:1754
	s_waitcnt lgkmcnt(18)
	ds_load_u16_d16_hi v127, v134 offset:2794
	;; [unrolled: 2-line block ×3, first 2 shown]
	ds_load_u16_d16_hi v125, v134 offset:2274
	v_wmma_i32_16x16x16_iu8 v[49:56], v[151:154], v[73:76], v[49:56] neg_lo:[1,1,0]
	ds_load_u16_d16_hi v128, v134 offset:3054
	s_waitcnt lgkmcnt(14)
	ds_load_u16_d16_hi v93, v134 offset:3314
	ds_load_u16_d16_hi v95, v134 offset:3834
	s_waitcnt lgkmcnt(14)
	ds_load_u16_d16_hi v94, v134 offset:3574
	v_wmma_i32_16x16x16_iu8 v[49:56], v[159:162], v[97:100], v[49:56] neg_lo:[1,1,0]
	s_waitcnt lgkmcnt(13)
	ds_load_u16_d16_hi v129, v134 offset:1234
	v_lshrrev_b32_e32 v134, 7, v0
	s_waitcnt lgkmcnt(0)
	s_barrier
	v_wmma_i32_16x16x16_iu8 v[49:56], v[139:142], v[105:108], v[49:56] neg_lo:[1,1,0]
	v_wmma_i32_16x16x16_iu8 v[33:40], v[155:158], v[69:72], v[33:40] neg_lo:[1,1,0]
	v_lshlrev_b32_e32 v0, 10, v134
	v_wmma_i32_16x16x16_iu8 v[17:24], v[155:158], v[113:116], v[17:24] neg_lo:[1,1,0]
	v_wmma_i32_16x16x16_iu8 v[25:32], v[155:158], v[81:84], v[25:32] neg_lo:[1,1,0]
	ds_store_2addr_b32 v163, v49, v50 offset1:32
	v_lshlrev_b32_e32 v49, 5, v164
	ds_store_2addr_b32 v163, v51, v52 offset0:64 offset1:96
	ds_store_2addr_b32 v163, v53, v54 offset0:128 offset1:160
	ds_store_2addr_b32 v163, v55, v56 offset0:192 offset1:224
	s_waitcnt lgkmcnt(0)
	s_barrier
	v_wmma_i32_16x16x16_iu8 v[33:40], v[151:154], v[77:80], v[33:40] neg_lo:[1,1,0]
	v_or3_b32 v0, v49, v0, v133
	v_wmma_i32_16x16x16_iu8 v[17:24], v[151:154], v[89:92], v[17:24] neg_lo:[1,1,0]
	v_wmma_i32_16x16x16_iu8 v[25:32], v[151:154], v[135:138], v[25:32] neg_lo:[1,1,0]
	;; [unrolled: 1-line block ×4, first 2 shown]
	v_lshlrev_b32_e32 v165, 2, v0
	ds_load_b128 v[49:52], v165 offset:16
	ds_load_b128 v[53:56], v165
	v_wmma_i32_16x16x16_iu8 v[33:40], v[139:142], v[101:104], v[33:40] neg_lo:[1,1,0]
	v_wmma_i32_16x16x16_iu8 v[17:24], v[159:162], v[109:112], v[17:24] neg_lo:[1,1,0]
	;; [unrolled: 1-line block ×11, first 2 shown]
	s_delay_alu instid0(VALU_DEP_3) | instskip(NEXT) | instid1(VALU_DEP_3)
	v_wmma_i32_16x16x16_iu8 v[57:64], v[93:96], v[147:150], v[57:64] neg_lo:[1,1,0]
	v_wmma_i32_16x16x16_iu8 v[41:48], v[125:128], v[109:112], v[41:48] neg_lo:[1,1,0]
	s_delay_alu instid0(VALU_DEP_3)
	v_wmma_i32_16x16x16_iu8 v[9:16], v[125:128], v[85:88], v[9:16] neg_lo:[1,1,0]
	s_waitcnt lgkmcnt(1)
	v_lshlrev_b16 v0, 8, v50
	v_lshlrev_b16 v50, 8, v52
	v_and_b32_e32 v51, 0xff, v51
	v_and_b32_e32 v49, 0xff, v49
	s_waitcnt lgkmcnt(0)
	v_lshlrev_b16 v52, 8, v54
	v_and_b32_e32 v53, 0xff, v53
	v_lshlrev_b16 v54, 8, v56
	v_and_b32_e32 v55, 0xff, v55
	v_or_b32_e32 v50, v51, v50
	v_add_nc_u32_e32 v51, s59, v134
	v_or_b32_e32 v49, v49, v0
	v_or_b32_e32 v52, v53, v52
	;; [unrolled: 1-line block ×4, first 2 shown]
	v_lshl_or_b32 v55, v51, 6, v164
	v_and_b32_e32 v54, 0xffff, v49
	v_lshlrev_b32_e32 v51, 16, v50
	v_and_b32_e32 v52, 0xffff, v52
	v_cmp_gt_i32_e32 vcc_lo, s68, v0
	v_cmp_gt_i32_e64 s1, s54, v55
	v_mad_u64_u32 v[49:50], null, v55, s55, v[0:1]
	v_lshlrev_b32_e32 v53, 16, v53
	v_or_b32_e32 v51, v54, v51
	s_delay_alu instid0(VALU_DEP_4)
	s_and_b32 s0, vcc_lo, s1
	s_mov_b32 s59, 0x31004000
	v_cndmask_b32_e64 v56, 0x80000000, 0, s0
	v_or_b32_e32 v50, v52, v53
	v_wmma_i32_16x16x16_iu8 v[41:48], v[93:96], v[121:124], v[41:48] neg_lo:[1,1,0]
	v_wmma_i32_16x16x16_iu8 v[9:16], v[93:96], v[101:104], v[9:16] neg_lo:[1,1,0]
	;; [unrolled: 1-line block ×3, first 2 shown]
	v_add_nc_u32_e32 v52, v56, v49
	s_delay_alu instid0(VALU_DEP_2)
	v_wmma_i32_16x16x16_iu8 v[1:8], v[129:132], v[73:76], v[1:8] neg_lo:[1,1,0]
	buffer_store_b64 v[50:51], v52, s[56:59], 0 offen
	s_waitcnt lgkmcnt(0)
	s_waitcnt_vscnt null, 0x0
	s_barrier
	ds_store_2addr_b32 v163, v33, v34 offset1:32
	ds_store_2addr_b32 v163, v35, v36 offset0:64 offset1:96
	ds_store_2addr_b32 v163, v37, v38 offset0:128 offset1:160
	;; [unrolled: 1-line block ×3, first 2 shown]
	s_waitcnt lgkmcnt(0)
	s_barrier
	ds_load_b128 v[33:36], v165 offset:16
	ds_load_b128 v[37:40], v165
	v_wmma_i32_16x16x16_iu8 v[1:8], v[125:128], v[97:100], v[1:8] neg_lo:[1,1,0]
	s_delay_alu instid0(VALU_DEP_1)
	v_wmma_i32_16x16x16_iu8 v[1:8], v[93:96], v[105:108], v[1:8] neg_lo:[1,1,0]
	s_waitcnt lgkmcnt(1)
	v_lshlrev_b16 v34, 8, v34
	v_and_b32_e32 v33, 0xff, v33
	v_lshlrev_b16 v36, 8, v36
	v_and_b32_e32 v35, 0xff, v35
	s_waitcnt lgkmcnt(0)
	v_lshlrev_b16 v38, 8, v38
	v_and_b32_e32 v37, 0xff, v37
	v_or_b32_e32 v33, v33, v34
	v_lshlrev_b16 v40, 8, v40
	v_or_b32_e32 v34, v35, v36
	v_or_b32_e32 v35, 32, v0
	v_and_b32_e32 v39, 0xff, v39
	v_or_b32_e32 v36, v37, v38
	v_and_b32_e32 v33, 0xffff, v33
	v_lshlrev_b32_e32 v34, 16, v34
	v_cmp_gt_i32_e64 s0, s68, v35
	v_or_b32_e32 v37, v39, v40
	v_and_b32_e32 v35, 0xffff, v36
	s_delay_alu instid0(VALU_DEP_4) | instskip(NEXT) | instid1(VALU_DEP_4)
	v_or_b32_e32 v34, v33, v34
	s_and_b32 s2, s1, s0
	s_delay_alu instid0(VALU_DEP_3) | instskip(SKIP_1) | instid1(VALU_DEP_2)
	v_lshlrev_b32_e32 v36, 16, v37
	v_cndmask_b32_e64 v37, 0x80000000, 0, s2
	v_or_b32_e32 v33, v35, v36
	s_delay_alu instid0(VALU_DEP_2)
	v_add_nc_u32_e32 v35, v49, v37
	buffer_store_b64 v[33:34], v35, s[56:59], 0 offen offset:32
	s_waitcnt lgkmcnt(0)
	s_waitcnt_vscnt null, 0x0
	s_barrier
	ds_store_2addr_b32 v163, v17, v18 offset1:32
	ds_store_2addr_b32 v163, v19, v20 offset0:64 offset1:96
	ds_store_2addr_b32 v163, v21, v22 offset0:128 offset1:160
	;; [unrolled: 1-line block ×3, first 2 shown]
	s_waitcnt lgkmcnt(0)
	s_barrier
	ds_load_b128 v[17:20], v165 offset:16
	ds_load_b128 v[21:24], v165
	v_or_b32_e32 v33, 64, v0
	v_or_b32_e32 v0, 0x60, v0
	s_delay_alu instid0(VALU_DEP_2) | instskip(NEXT) | instid1(VALU_DEP_1)
	v_cmp_gt_i32_e64 s2, s68, v33
	s_and_b32 s3, s1, s2
	s_waitcnt lgkmcnt(1)
	v_lshlrev_b16 v18, 8, v18
	v_and_b32_e32 v17, 0xff, v17
	v_lshlrev_b16 v20, 8, v20
	v_and_b32_e32 v19, 0xff, v19
	s_waitcnt lgkmcnt(0)
	v_lshlrev_b16 v22, 8, v22
	v_and_b32_e32 v21, 0xff, v21
	v_lshlrev_b16 v24, 8, v24
	v_and_b32_e32 v23, 0xff, v23
	v_or_b32_e32 v17, v17, v18
	v_or_b32_e32 v18, v19, v20
	;; [unrolled: 1-line block ×3, first 2 shown]
	v_cndmask_b32_e64 v21, 0x80000000, 0, s3
	v_or_b32_e32 v20, v23, v24
	v_and_b32_e32 v17, 0xffff, v17
	v_lshlrev_b32_e32 v18, 16, v18
	v_and_b32_e32 v19, 0xffff, v19
	v_add_nc_u32_e32 v21, v49, v21
	v_lshlrev_b32_e32 v20, 16, v20
	v_cmp_gt_i32_e64 s3, s68, v0
	v_or_b32_e32 v18, v17, v18
	s_delay_alu instid0(VALU_DEP_3) | instskip(NEXT) | instid1(VALU_DEP_3)
	v_or_b32_e32 v17, v19, v20
	s_and_b32 s1, s1, s3
	buffer_store_b64 v[17:18], v21, s[56:59], 0 offen offset:64
	s_waitcnt lgkmcnt(0)
	s_waitcnt_vscnt null, 0x0
	s_barrier
	ds_store_2addr_b32 v163, v25, v26 offset1:32
	ds_store_2addr_b32 v163, v27, v28 offset0:64 offset1:96
	ds_store_2addr_b32 v163, v29, v30 offset0:128 offset1:160
	;; [unrolled: 1-line block ×3, first 2 shown]
	s_waitcnt lgkmcnt(0)
	s_barrier
	ds_load_b128 v[17:20], v165 offset:16
	ds_load_b128 v[21:24], v165
	v_add_nc_u32_e32 v25, 0x60, v49
	s_waitcnt lgkmcnt(1)
	v_lshlrev_b16 v18, 8, v18
	v_and_b32_e32 v17, 0xff, v17
	v_lshlrev_b16 v20, 8, v20
	v_and_b32_e32 v19, 0xff, v19
	s_waitcnt lgkmcnt(0)
	v_lshlrev_b16 v22, 8, v22
	v_and_b32_e32 v21, 0xff, v21
	v_lshlrev_b16 v24, 8, v24
	v_and_b32_e32 v23, 0xff, v23
	v_or_b32_e32 v17, v17, v18
	v_or_b32_e32 v18, v19, v20
	;; [unrolled: 1-line block ×3, first 2 shown]
	v_cndmask_b32_e64 v21, 0x80000000, 0, s1
	v_or_b32_e32 v20, v23, v24
	v_and_b32_e32 v0, 0xffff, v17
	v_lshlrev_b32_e32 v17, 16, v18
	v_and_b32_e32 v19, 0xffff, v19
	s_delay_alu instid0(VALU_DEP_4) | instskip(NEXT) | instid1(VALU_DEP_3)
	v_lshlrev_b32_e32 v20, 16, v20
	v_or_b32_e32 v18, v0, v17
	v_add_nc_u32_e32 v0, v21, v25
	v_add_nc_u32_e32 v25, s4, v25
	s_delay_alu instid0(VALU_DEP_4)
	v_or_b32_e32 v17, v19, v20
	buffer_store_b64 v[17:18], v0, s[56:59], 0 offen
	s_waitcnt lgkmcnt(0)
	s_waitcnt_vscnt null, 0x0
	s_barrier
	ds_store_2addr_b32 v163, v57, v58 offset1:32
	ds_store_2addr_b32 v163, v59, v60 offset0:64 offset1:96
	ds_store_2addr_b32 v163, v61, v62 offset0:128 offset1:160
	ds_store_2addr_b32 v163, v63, v64 offset0:192 offset1:224
	s_waitcnt lgkmcnt(0)
	s_barrier
	ds_load_b128 v[17:20], v165 offset:16
	ds_load_b128 v[21:24], v165
	v_or_b32_e32 v0, 32, v55
	s_delay_alu instid0(VALU_DEP_1) | instskip(NEXT) | instid1(VALU_DEP_1)
	v_cmp_gt_i32_e64 s1, s54, v0
	s_and_b32 s3, s3, s1
	s_and_b32 s2, s2, s1
	s_and_b32 s0, s0, s1
	s_waitcnt lgkmcnt(1)
	v_lshlrev_b16 v18, 8, v18
	v_and_b32_e32 v17, 0xff, v17
	v_lshlrev_b16 v20, 8, v20
	v_and_b32_e32 v19, 0xff, v19
	s_waitcnt lgkmcnt(0)
	v_lshlrev_b16 v22, 8, v22
	v_and_b32_e32 v21, 0xff, v21
	v_lshlrev_b16 v24, 8, v24
	v_and_b32_e32 v23, 0xff, v23
	v_or_b32_e32 v17, v17, v18
	v_or_b32_e32 v18, v19, v20
	v_or_b32_e32 v19, v21, v22
	v_cndmask_b32_e64 v21, 0x80000000, 0, s3
	v_or_b32_e32 v20, v23, v24
	v_and_b32_e32 v0, 0xffff, v17
	v_lshlrev_b32_e32 v17, 16, v18
	v_and_b32_e32 v19, 0xffff, v19
	s_delay_alu instid0(VALU_DEP_4) | instskip(NEXT) | instid1(VALU_DEP_3)
	v_lshlrev_b32_e32 v20, 16, v20
	v_or_b32_e32 v18, v0, v17
	v_add_nc_u32_e32 v0, v21, v25
	s_delay_alu instid0(VALU_DEP_3)
	v_or_b32_e32 v17, v19, v20
	buffer_store_b64 v[17:18], v0, s[56:59], 0 offen
	s_waitcnt lgkmcnt(0)
	s_waitcnt_vscnt null, 0x0
	s_barrier
	ds_store_2addr_b32 v163, v41, v42 offset1:32
	ds_store_2addr_b32 v163, v43, v44 offset0:64 offset1:96
	ds_store_2addr_b32 v163, v45, v46 offset0:128 offset1:160
	;; [unrolled: 1-line block ×3, first 2 shown]
	s_waitcnt lgkmcnt(0)
	s_barrier
	ds_load_b128 v[17:20], v165 offset:16
	ds_load_b128 v[21:24], v165
	s_waitcnt lgkmcnt(1)
	v_lshlrev_b16 v0, 8, v18
	v_and_b32_e32 v17, 0xff, v17
	v_lshlrev_b16 v18, 8, v20
	v_and_b32_e32 v19, 0xff, v19
	s_waitcnt lgkmcnt(0)
	v_lshlrev_b16 v20, 8, v22
	v_and_b32_e32 v21, 0xff, v21
	v_lshlrev_b16 v22, 8, v24
	v_and_b32_e32 v23, 0xff, v23
	v_or_b32_e32 v0, v17, v0
	v_or_b32_e32 v17, v19, v18
	;; [unrolled: 1-line block ×3, first 2 shown]
	v_cndmask_b32_e64 v21, 0x80000000, 0, s2
	v_or_b32_e32 v19, v23, v22
	v_and_b32_e32 v0, 0xffff, v0
	v_lshlrev_b32_e32 v17, 16, v17
	v_and_b32_e32 v20, 0xffff, v18
	s_delay_alu instid0(VALU_DEP_4) | instskip(NEXT) | instid1(VALU_DEP_3)
	v_lshlrev_b32_e32 v19, 16, v19
	v_or_b32_e32 v18, v0, v17
	v_add3_u32 v0, v25, v21, 0xffffffe0
	s_delay_alu instid0(VALU_DEP_3)
	v_or_b32_e32 v17, v20, v19
	buffer_store_b64 v[17:18], v0, s[56:59], 0 offen
	s_waitcnt lgkmcnt(0)
	s_waitcnt_vscnt null, 0x0
	s_barrier
	ds_store_2addr_b32 v163, v9, v10 offset1:32
	ds_store_2addr_b32 v163, v11, v12 offset0:64 offset1:96
	ds_store_2addr_b32 v163, v13, v14 offset0:128 offset1:160
	ds_store_2addr_b32 v163, v15, v16 offset0:192 offset1:224
	s_waitcnt lgkmcnt(0)
	s_barrier
	ds_load_b128 v[9:12], v165 offset:16
	ds_load_b128 v[13:16], v165
	s_waitcnt lgkmcnt(1)
	v_lshlrev_b16 v0, 8, v10
	v_and_b32_e32 v9, 0xff, v9
	v_lshlrev_b16 v10, 8, v12
	v_and_b32_e32 v11, 0xff, v11
	s_waitcnt lgkmcnt(0)
	v_lshlrev_b16 v12, 8, v14
	v_and_b32_e32 v13, 0xff, v13
	v_lshlrev_b16 v14, 8, v16
	v_and_b32_e32 v15, 0xff, v15
	v_or_b32_e32 v0, v9, v0
	v_or_b32_e32 v9, v11, v10
	;; [unrolled: 1-line block ×3, first 2 shown]
	v_cndmask_b32_e64 v13, 0x80000000, 0, s0
	v_or_b32_e32 v11, v15, v14
	v_and_b32_e32 v0, 0xffff, v0
	v_lshlrev_b32_e32 v9, 16, v9
	v_and_b32_e32 v12, 0xffff, v10
	s_and_b32 s0, vcc_lo, s1
	v_lshlrev_b32_e32 v11, 16, v11
	s_delay_alu instid0(VALU_DEP_3) | instskip(SKIP_1) | instid1(VALU_DEP_3)
	v_or_b32_e32 v10, v0, v9
	v_add3_u32 v0, v25, v13, 0xffffffc0
	v_or_b32_e32 v9, v12, v11
	buffer_store_b64 v[9:10], v0, s[56:59], 0 offen
	s_waitcnt lgkmcnt(0)
	s_waitcnt_vscnt null, 0x0
	s_barrier
	ds_store_2addr_b32 v163, v1, v2 offset1:32
	ds_store_2addr_b32 v163, v3, v4 offset0:64 offset1:96
	ds_store_2addr_b32 v163, v5, v6 offset0:128 offset1:160
	;; [unrolled: 1-line block ×3, first 2 shown]
	s_waitcnt lgkmcnt(0)
	s_barrier
	ds_load_b128 v[0:3], v165 offset:16
	ds_load_b128 v[4:7], v165
	s_waitcnt lgkmcnt(1)
	v_lshlrev_b16 v1, 8, v1
	v_and_b32_e32 v0, 0xff, v0
	v_lshlrev_b16 v3, 8, v3
	v_and_b32_e32 v2, 0xff, v2
	s_waitcnt lgkmcnt(0)
	v_lshlrev_b16 v5, 8, v5
	v_and_b32_e32 v4, 0xff, v4
	v_lshlrev_b16 v7, 8, v7
	v_and_b32_e32 v6, 0xff, v6
	v_or_b32_e32 v0, v0, v1
	v_or_b32_e32 v1, v2, v3
	;; [unrolled: 1-line block ×3, first 2 shown]
	v_cndmask_b32_e64 v4, 0x80000000, 0, s0
	v_or_b32_e32 v3, v6, v7
	v_and_b32_e32 v0, 0xffff, v0
	v_lshlrev_b32_e32 v1, 16, v1
	v_and_b32_e32 v2, 0xffff, v2
	s_delay_alu instid0(VALU_DEP_4) | instskip(NEXT) | instid1(VALU_DEP_3)
	v_lshlrev_b32_e32 v3, 16, v3
	v_or_b32_e32 v1, v0, v1
	s_delay_alu instid0(VALU_DEP_2)
	v_or_b32_e32 v0, v2, v3
	v_add3_u32 v2, v49, s4, v4
	buffer_store_b64 v[0:1], v2, s[56:59], 0 offen
	s_nop 0
	s_sendmsg sendmsg(MSG_DEALLOC_VGPRS)
	s_endpgm
	.section	.rodata,"a",@progbits
	.p2align	6, 0x0
	.amdhsa_kernel _ZN2ck16kernel_gemm_wmmaINS_17GridwiseGemm_WmmaILi128EaaiiaLNS_25InMemoryDataOperationEnumE0ENS_16TensorDescriptorINS_5TupleIJNS_5EmbedINS4_IJiiEEENS4_IJiNS_17integral_constantIiLi1EEEEEELb0EEENS_8RightPadIiiLb0EEESC_NS_7UnMergeINS4_IJiNS7_IiLi2EEEEEELb0EEENS_11PassThroughIiEEEEENS4_IJNS_8SequenceIJLi0EEEENSK_IJLi1EEEENSK_IJLi2EEEENSK_IJLi4EEEENSK_IJLi3EEEEEEENS4_IJNSK_IJLi1ELi2EEEESP_SO_NSK_IJLi5ELi6EEEENSK_IJLi7EEEEEEENSK_IJLi5ELi7ELi6EEEElEESW_NS3_INS4_IJSA_SC_SC_EEENS4_IJSL_SM_SN_EEENS4_IJSR_SP_SO_EEENSK_IJLi3ELi4EEEElEENS_16tensor_operation12element_wise11PassThroughES14_S14_Li64ELi128ELi64ELi16ELi16ELi2ELi2ELi4ENSK_IJLi4ELi32ELi1EEEENSK_IJLi1ELi0ELi2EEEES16_Li2ELi2ELi2ELb0ELb1ELb1ES15_S16_S16_Li2ELi2ELi2ELb0ELb1ELb1ELi1ELi1ENSK_IJLi1ELi32ELi1ELi4EEEELi8ELi1ELNS_13LoopSchedulerE0ELNS_15PipelineVersionE0EEEaaaSW_SW_NS3_INS4_IJSA_SC_SC_NSD_INS4_IJiNS7_IiLi64EEEEEELb0EEENSD_INS4_IJiNS7_IiLi128EEEEEELb0EEEEEENS4_IJSL_SM_SN_SP_SO_EEENS4_IJSR_SP_SO_SS_NSK_IJLi7ELi8EEEEEEENSK_IJLi5ELi6ELi7ELi8EEEElEES14_S14_S14_NS_31BlockToCTileMap_M00_N0_M01AdaptILi64ELi128ES11_iEELb1EEEvPKT0_PKT1_PT2_T3_T4_T5_T6_T7_T8_T9_
		.amdhsa_group_segment_fixed_size 12412
		.amdhsa_private_segment_fixed_size 0
		.amdhsa_kernarg_size 264
		.amdhsa_user_sgpr_count 15
		.amdhsa_user_sgpr_dispatch_ptr 0
		.amdhsa_user_sgpr_queue_ptr 0
		.amdhsa_user_sgpr_kernarg_segment_ptr 1
		.amdhsa_user_sgpr_dispatch_id 0
		.amdhsa_user_sgpr_private_segment_size 0
		.amdhsa_wavefront_size32 1
		.amdhsa_uses_dynamic_stack 0
		.amdhsa_enable_private_segment 0
		.amdhsa_system_sgpr_workgroup_id_x 1
		.amdhsa_system_sgpr_workgroup_id_y 0
		.amdhsa_system_sgpr_workgroup_id_z 0
		.amdhsa_system_sgpr_workgroup_info 0
		.amdhsa_system_vgpr_workitem_id 0
		.amdhsa_next_free_vgpr 180
		.amdhsa_next_free_sgpr 74
		.amdhsa_reserve_vcc 1
		.amdhsa_float_round_mode_32 0
		.amdhsa_float_round_mode_16_64 0
		.amdhsa_float_denorm_mode_32 3
		.amdhsa_float_denorm_mode_16_64 3
		.amdhsa_dx10_clamp 1
		.amdhsa_ieee_mode 1
		.amdhsa_fp16_overflow 0
		.amdhsa_workgroup_processor_mode 1
		.amdhsa_memory_ordered 1
		.amdhsa_forward_progress 0
		.amdhsa_shared_vgpr_count 0
		.amdhsa_exception_fp_ieee_invalid_op 0
		.amdhsa_exception_fp_denorm_src 0
		.amdhsa_exception_fp_ieee_div_zero 0
		.amdhsa_exception_fp_ieee_overflow 0
		.amdhsa_exception_fp_ieee_underflow 0
		.amdhsa_exception_fp_ieee_inexact 0
		.amdhsa_exception_int_div_zero 0
	.end_amdhsa_kernel
	.section	.text._ZN2ck16kernel_gemm_wmmaINS_17GridwiseGemm_WmmaILi128EaaiiaLNS_25InMemoryDataOperationEnumE0ENS_16TensorDescriptorINS_5TupleIJNS_5EmbedINS4_IJiiEEENS4_IJiNS_17integral_constantIiLi1EEEEEELb0EEENS_8RightPadIiiLb0EEESC_NS_7UnMergeINS4_IJiNS7_IiLi2EEEEEELb0EEENS_11PassThroughIiEEEEENS4_IJNS_8SequenceIJLi0EEEENSK_IJLi1EEEENSK_IJLi2EEEENSK_IJLi4EEEENSK_IJLi3EEEEEEENS4_IJNSK_IJLi1ELi2EEEESP_SO_NSK_IJLi5ELi6EEEENSK_IJLi7EEEEEEENSK_IJLi5ELi7ELi6EEEElEESW_NS3_INS4_IJSA_SC_SC_EEENS4_IJSL_SM_SN_EEENS4_IJSR_SP_SO_EEENSK_IJLi3ELi4EEEElEENS_16tensor_operation12element_wise11PassThroughES14_S14_Li64ELi128ELi64ELi16ELi16ELi2ELi2ELi4ENSK_IJLi4ELi32ELi1EEEENSK_IJLi1ELi0ELi2EEEES16_Li2ELi2ELi2ELb0ELb1ELb1ES15_S16_S16_Li2ELi2ELi2ELb0ELb1ELb1ELi1ELi1ENSK_IJLi1ELi32ELi1ELi4EEEELi8ELi1ELNS_13LoopSchedulerE0ELNS_15PipelineVersionE0EEEaaaSW_SW_NS3_INS4_IJSA_SC_SC_NSD_INS4_IJiNS7_IiLi64EEEEEELb0EEENSD_INS4_IJiNS7_IiLi128EEEEEELb0EEEEEENS4_IJSL_SM_SN_SP_SO_EEENS4_IJSR_SP_SO_SS_NSK_IJLi7ELi8EEEEEEENSK_IJLi5ELi6ELi7ELi8EEEElEES14_S14_S14_NS_31BlockToCTileMap_M00_N0_M01AdaptILi64ELi128ES11_iEELb1EEEvPKT0_PKT1_PT2_T3_T4_T5_T6_T7_T8_T9_,"axG",@progbits,_ZN2ck16kernel_gemm_wmmaINS_17GridwiseGemm_WmmaILi128EaaiiaLNS_25InMemoryDataOperationEnumE0ENS_16TensorDescriptorINS_5TupleIJNS_5EmbedINS4_IJiiEEENS4_IJiNS_17integral_constantIiLi1EEEEEELb0EEENS_8RightPadIiiLb0EEESC_NS_7UnMergeINS4_IJiNS7_IiLi2EEEEEELb0EEENS_11PassThroughIiEEEEENS4_IJNS_8SequenceIJLi0EEEENSK_IJLi1EEEENSK_IJLi2EEEENSK_IJLi4EEEENSK_IJLi3EEEEEEENS4_IJNSK_IJLi1ELi2EEEESP_SO_NSK_IJLi5ELi6EEEENSK_IJLi7EEEEEEENSK_IJLi5ELi7ELi6EEEElEESW_NS3_INS4_IJSA_SC_SC_EEENS4_IJSL_SM_SN_EEENS4_IJSR_SP_SO_EEENSK_IJLi3ELi4EEEElEENS_16tensor_operation12element_wise11PassThroughES14_S14_Li64ELi128ELi64ELi16ELi16ELi2ELi2ELi4ENSK_IJLi4ELi32ELi1EEEENSK_IJLi1ELi0ELi2EEEES16_Li2ELi2ELi2ELb0ELb1ELb1ES15_S16_S16_Li2ELi2ELi2ELb0ELb1ELb1ELi1ELi1ENSK_IJLi1ELi32ELi1ELi4EEEELi8ELi1ELNS_13LoopSchedulerE0ELNS_15PipelineVersionE0EEEaaaSW_SW_NS3_INS4_IJSA_SC_SC_NSD_INS4_IJiNS7_IiLi64EEEEEELb0EEENSD_INS4_IJiNS7_IiLi128EEEEEELb0EEEEEENS4_IJSL_SM_SN_SP_SO_EEENS4_IJSR_SP_SO_SS_NSK_IJLi7ELi8EEEEEEENSK_IJLi5ELi6ELi7ELi8EEEElEES14_S14_S14_NS_31BlockToCTileMap_M00_N0_M01AdaptILi64ELi128ES11_iEELb1EEEvPKT0_PKT1_PT2_T3_T4_T5_T6_T7_T8_T9_,comdat
.Lfunc_end1:
	.size	_ZN2ck16kernel_gemm_wmmaINS_17GridwiseGemm_WmmaILi128EaaiiaLNS_25InMemoryDataOperationEnumE0ENS_16TensorDescriptorINS_5TupleIJNS_5EmbedINS4_IJiiEEENS4_IJiNS_17integral_constantIiLi1EEEEEELb0EEENS_8RightPadIiiLb0EEESC_NS_7UnMergeINS4_IJiNS7_IiLi2EEEEEELb0EEENS_11PassThroughIiEEEEENS4_IJNS_8SequenceIJLi0EEEENSK_IJLi1EEEENSK_IJLi2EEEENSK_IJLi4EEEENSK_IJLi3EEEEEEENS4_IJNSK_IJLi1ELi2EEEESP_SO_NSK_IJLi5ELi6EEEENSK_IJLi7EEEEEEENSK_IJLi5ELi7ELi6EEEElEESW_NS3_INS4_IJSA_SC_SC_EEENS4_IJSL_SM_SN_EEENS4_IJSR_SP_SO_EEENSK_IJLi3ELi4EEEElEENS_16tensor_operation12element_wise11PassThroughES14_S14_Li64ELi128ELi64ELi16ELi16ELi2ELi2ELi4ENSK_IJLi4ELi32ELi1EEEENSK_IJLi1ELi0ELi2EEEES16_Li2ELi2ELi2ELb0ELb1ELb1ES15_S16_S16_Li2ELi2ELi2ELb0ELb1ELb1ELi1ELi1ENSK_IJLi1ELi32ELi1ELi4EEEELi8ELi1ELNS_13LoopSchedulerE0ELNS_15PipelineVersionE0EEEaaaSW_SW_NS3_INS4_IJSA_SC_SC_NSD_INS4_IJiNS7_IiLi64EEEEEELb0EEENSD_INS4_IJiNS7_IiLi128EEEEEELb0EEEEEENS4_IJSL_SM_SN_SP_SO_EEENS4_IJSR_SP_SO_SS_NSK_IJLi7ELi8EEEEEEENSK_IJLi5ELi6ELi7ELi8EEEElEES14_S14_S14_NS_31BlockToCTileMap_M00_N0_M01AdaptILi64ELi128ES11_iEELb1EEEvPKT0_PKT1_PT2_T3_T4_T5_T6_T7_T8_T9_, .Lfunc_end1-_ZN2ck16kernel_gemm_wmmaINS_17GridwiseGemm_WmmaILi128EaaiiaLNS_25InMemoryDataOperationEnumE0ENS_16TensorDescriptorINS_5TupleIJNS_5EmbedINS4_IJiiEEENS4_IJiNS_17integral_constantIiLi1EEEEEELb0EEENS_8RightPadIiiLb0EEESC_NS_7UnMergeINS4_IJiNS7_IiLi2EEEEEELb0EEENS_11PassThroughIiEEEEENS4_IJNS_8SequenceIJLi0EEEENSK_IJLi1EEEENSK_IJLi2EEEENSK_IJLi4EEEENSK_IJLi3EEEEEEENS4_IJNSK_IJLi1ELi2EEEESP_SO_NSK_IJLi5ELi6EEEENSK_IJLi7EEEEEEENSK_IJLi5ELi7ELi6EEEElEESW_NS3_INS4_IJSA_SC_SC_EEENS4_IJSL_SM_SN_EEENS4_IJSR_SP_SO_EEENSK_IJLi3ELi4EEEElEENS_16tensor_operation12element_wise11PassThroughES14_S14_Li64ELi128ELi64ELi16ELi16ELi2ELi2ELi4ENSK_IJLi4ELi32ELi1EEEENSK_IJLi1ELi0ELi2EEEES16_Li2ELi2ELi2ELb0ELb1ELb1ES15_S16_S16_Li2ELi2ELi2ELb0ELb1ELb1ELi1ELi1ENSK_IJLi1ELi32ELi1ELi4EEEELi8ELi1ELNS_13LoopSchedulerE0ELNS_15PipelineVersionE0EEEaaaSW_SW_NS3_INS4_IJSA_SC_SC_NSD_INS4_IJiNS7_IiLi64EEEEEELb0EEENSD_INS4_IJiNS7_IiLi128EEEEEELb0EEEEEENS4_IJSL_SM_SN_SP_SO_EEENS4_IJSR_SP_SO_SS_NSK_IJLi7ELi8EEEEEEENSK_IJLi5ELi6ELi7ELi8EEEElEES14_S14_S14_NS_31BlockToCTileMap_M00_N0_M01AdaptILi64ELi128ES11_iEELb1EEEvPKT0_PKT1_PT2_T3_T4_T5_T6_T7_T8_T9_
                                        ; -- End function
	.section	.AMDGPU.csdata,"",@progbits
; Kernel info:
; codeLenInByte = 12004
; NumSgprs: 76
; NumVgprs: 180
; ScratchSize: 0
; MemoryBound: 0
; FloatMode: 240
; IeeeMode: 1
; LDSByteSize: 12412 bytes/workgroup (compile time only)
; SGPRBlocks: 9
; VGPRBlocks: 22
; NumSGPRsForWavesPerEU: 76
; NumVGPRsForWavesPerEU: 180
; Occupancy: 8
; WaveLimiterHint : 0
; COMPUTE_PGM_RSRC2:SCRATCH_EN: 0
; COMPUTE_PGM_RSRC2:USER_SGPR: 15
; COMPUTE_PGM_RSRC2:TRAP_HANDLER: 0
; COMPUTE_PGM_RSRC2:TGID_X_EN: 1
; COMPUTE_PGM_RSRC2:TGID_Y_EN: 0
; COMPUTE_PGM_RSRC2:TGID_Z_EN: 0
; COMPUTE_PGM_RSRC2:TIDIG_COMP_CNT: 0
	.section	.text._ZN2ck16kernel_gemm_wmmaINS_17GridwiseGemm_WmmaILi128EaaiiaLNS_25InMemoryDataOperationEnumE0ENS_16TensorDescriptorINS_5TupleIJNS_5EmbedINS4_IJiiEEENS4_IJiNS_17integral_constantIiLi1EEEEEELb0EEENS_8RightPadIiiLb0EEESC_NS_7UnMergeINS4_IJiNS7_IiLi2EEEEEELb0EEENS_11PassThroughIiEEEEENS4_IJNS_8SequenceIJLi0EEEENSK_IJLi1EEEENSK_IJLi2EEEENSK_IJLi4EEEENSK_IJLi3EEEEEEENS4_IJNSK_IJLi1ELi2EEEESP_SO_NSK_IJLi5ELi6EEEENSK_IJLi7EEEEEEENSK_IJLi5ELi7ELi6EEEElEESW_NS3_INS4_IJSA_SC_SC_EEENS4_IJSL_SM_SN_EEENS4_IJSR_SP_SO_EEENSK_IJLi3ELi4EEEElEENS_16tensor_operation12element_wise11PassThroughES14_S14_Li64ELi128ELi64ELi16ELi16ELi2ELi2ELi4ENSK_IJLi4ELi32ELi1EEEENSK_IJLi1ELi0ELi2EEEES16_Li2ELi2ELi2ELb0ELb1ELb1ES15_S16_S16_Li2ELi2ELi2ELb0ELb1ELb1ELi1ELi1ENSK_IJLi1ELi32ELi1ELi4EEEELi8ELi1ELNS_13LoopSchedulerE0ELNS_15PipelineVersionE0EEEaaaSW_SW_NS3_INS4_IJSA_SC_SC_NSD_INS4_IJiNS7_IiLi64EEEEEELb0EEENSD_INS4_IJiNS7_IiLi128EEEEEELb0EEEEEENS4_IJSL_SM_SN_SP_SO_EEENS4_IJSR_SP_SO_SS_NSK_IJLi7ELi8EEEEEEENSK_IJLi5ELi6ELi7ELi8EEEElEES14_S14_S14_NS_31BlockToCTileMap_M00_N0_M01AdaptILi64ELi128ES11_iEELb0EEEvPKT0_PKT1_PT2_T3_T4_T5_T6_T7_T8_T9_,"axG",@progbits,_ZN2ck16kernel_gemm_wmmaINS_17GridwiseGemm_WmmaILi128EaaiiaLNS_25InMemoryDataOperationEnumE0ENS_16TensorDescriptorINS_5TupleIJNS_5EmbedINS4_IJiiEEENS4_IJiNS_17integral_constantIiLi1EEEEEELb0EEENS_8RightPadIiiLb0EEESC_NS_7UnMergeINS4_IJiNS7_IiLi2EEEEEELb0EEENS_11PassThroughIiEEEEENS4_IJNS_8SequenceIJLi0EEEENSK_IJLi1EEEENSK_IJLi2EEEENSK_IJLi4EEEENSK_IJLi3EEEEEEENS4_IJNSK_IJLi1ELi2EEEESP_SO_NSK_IJLi5ELi6EEEENSK_IJLi7EEEEEEENSK_IJLi5ELi7ELi6EEEElEESW_NS3_INS4_IJSA_SC_SC_EEENS4_IJSL_SM_SN_EEENS4_IJSR_SP_SO_EEENSK_IJLi3ELi4EEEElEENS_16tensor_operation12element_wise11PassThroughES14_S14_Li64ELi128ELi64ELi16ELi16ELi2ELi2ELi4ENSK_IJLi4ELi32ELi1EEEENSK_IJLi1ELi0ELi2EEEES16_Li2ELi2ELi2ELb0ELb1ELb1ES15_S16_S16_Li2ELi2ELi2ELb0ELb1ELb1ELi1ELi1ENSK_IJLi1ELi32ELi1ELi4EEEELi8ELi1ELNS_13LoopSchedulerE0ELNS_15PipelineVersionE0EEEaaaSW_SW_NS3_INS4_IJSA_SC_SC_NSD_INS4_IJiNS7_IiLi64EEEEEELb0EEENSD_INS4_IJiNS7_IiLi128EEEEEELb0EEEEEENS4_IJSL_SM_SN_SP_SO_EEENS4_IJSR_SP_SO_SS_NSK_IJLi7ELi8EEEEEEENSK_IJLi5ELi6ELi7ELi8EEEElEES14_S14_S14_NS_31BlockToCTileMap_M00_N0_M01AdaptILi64ELi128ES11_iEELb0EEEvPKT0_PKT1_PT2_T3_T4_T5_T6_T7_T8_T9_,comdat
	.protected	_ZN2ck16kernel_gemm_wmmaINS_17GridwiseGemm_WmmaILi128EaaiiaLNS_25InMemoryDataOperationEnumE0ENS_16TensorDescriptorINS_5TupleIJNS_5EmbedINS4_IJiiEEENS4_IJiNS_17integral_constantIiLi1EEEEEELb0EEENS_8RightPadIiiLb0EEESC_NS_7UnMergeINS4_IJiNS7_IiLi2EEEEEELb0EEENS_11PassThroughIiEEEEENS4_IJNS_8SequenceIJLi0EEEENSK_IJLi1EEEENSK_IJLi2EEEENSK_IJLi4EEEENSK_IJLi3EEEEEEENS4_IJNSK_IJLi1ELi2EEEESP_SO_NSK_IJLi5ELi6EEEENSK_IJLi7EEEEEEENSK_IJLi5ELi7ELi6EEEElEESW_NS3_INS4_IJSA_SC_SC_EEENS4_IJSL_SM_SN_EEENS4_IJSR_SP_SO_EEENSK_IJLi3ELi4EEEElEENS_16tensor_operation12element_wise11PassThroughES14_S14_Li64ELi128ELi64ELi16ELi16ELi2ELi2ELi4ENSK_IJLi4ELi32ELi1EEEENSK_IJLi1ELi0ELi2EEEES16_Li2ELi2ELi2ELb0ELb1ELb1ES15_S16_S16_Li2ELi2ELi2ELb0ELb1ELb1ELi1ELi1ENSK_IJLi1ELi32ELi1ELi4EEEELi8ELi1ELNS_13LoopSchedulerE0ELNS_15PipelineVersionE0EEEaaaSW_SW_NS3_INS4_IJSA_SC_SC_NSD_INS4_IJiNS7_IiLi64EEEEEELb0EEENSD_INS4_IJiNS7_IiLi128EEEEEELb0EEEEEENS4_IJSL_SM_SN_SP_SO_EEENS4_IJSR_SP_SO_SS_NSK_IJLi7ELi8EEEEEEENSK_IJLi5ELi6ELi7ELi8EEEElEES14_S14_S14_NS_31BlockToCTileMap_M00_N0_M01AdaptILi64ELi128ES11_iEELb0EEEvPKT0_PKT1_PT2_T3_T4_T5_T6_T7_T8_T9_ ; -- Begin function _ZN2ck16kernel_gemm_wmmaINS_17GridwiseGemm_WmmaILi128EaaiiaLNS_25InMemoryDataOperationEnumE0ENS_16TensorDescriptorINS_5TupleIJNS_5EmbedINS4_IJiiEEENS4_IJiNS_17integral_constantIiLi1EEEEEELb0EEENS_8RightPadIiiLb0EEESC_NS_7UnMergeINS4_IJiNS7_IiLi2EEEEEELb0EEENS_11PassThroughIiEEEEENS4_IJNS_8SequenceIJLi0EEEENSK_IJLi1EEEENSK_IJLi2EEEENSK_IJLi4EEEENSK_IJLi3EEEEEEENS4_IJNSK_IJLi1ELi2EEEESP_SO_NSK_IJLi5ELi6EEEENSK_IJLi7EEEEEEENSK_IJLi5ELi7ELi6EEEElEESW_NS3_INS4_IJSA_SC_SC_EEENS4_IJSL_SM_SN_EEENS4_IJSR_SP_SO_EEENSK_IJLi3ELi4EEEElEENS_16tensor_operation12element_wise11PassThroughES14_S14_Li64ELi128ELi64ELi16ELi16ELi2ELi2ELi4ENSK_IJLi4ELi32ELi1EEEENSK_IJLi1ELi0ELi2EEEES16_Li2ELi2ELi2ELb0ELb1ELb1ES15_S16_S16_Li2ELi2ELi2ELb0ELb1ELb1ELi1ELi1ENSK_IJLi1ELi32ELi1ELi4EEEELi8ELi1ELNS_13LoopSchedulerE0ELNS_15PipelineVersionE0EEEaaaSW_SW_NS3_INS4_IJSA_SC_SC_NSD_INS4_IJiNS7_IiLi64EEEEEELb0EEENSD_INS4_IJiNS7_IiLi128EEEEEELb0EEEEEENS4_IJSL_SM_SN_SP_SO_EEENS4_IJSR_SP_SO_SS_NSK_IJLi7ELi8EEEEEEENSK_IJLi5ELi6ELi7ELi8EEEElEES14_S14_S14_NS_31BlockToCTileMap_M00_N0_M01AdaptILi64ELi128ES11_iEELb0EEEvPKT0_PKT1_PT2_T3_T4_T5_T6_T7_T8_T9_
	.globl	_ZN2ck16kernel_gemm_wmmaINS_17GridwiseGemm_WmmaILi128EaaiiaLNS_25InMemoryDataOperationEnumE0ENS_16TensorDescriptorINS_5TupleIJNS_5EmbedINS4_IJiiEEENS4_IJiNS_17integral_constantIiLi1EEEEEELb0EEENS_8RightPadIiiLb0EEESC_NS_7UnMergeINS4_IJiNS7_IiLi2EEEEEELb0EEENS_11PassThroughIiEEEEENS4_IJNS_8SequenceIJLi0EEEENSK_IJLi1EEEENSK_IJLi2EEEENSK_IJLi4EEEENSK_IJLi3EEEEEEENS4_IJNSK_IJLi1ELi2EEEESP_SO_NSK_IJLi5ELi6EEEENSK_IJLi7EEEEEEENSK_IJLi5ELi7ELi6EEEElEESW_NS3_INS4_IJSA_SC_SC_EEENS4_IJSL_SM_SN_EEENS4_IJSR_SP_SO_EEENSK_IJLi3ELi4EEEElEENS_16tensor_operation12element_wise11PassThroughES14_S14_Li64ELi128ELi64ELi16ELi16ELi2ELi2ELi4ENSK_IJLi4ELi32ELi1EEEENSK_IJLi1ELi0ELi2EEEES16_Li2ELi2ELi2ELb0ELb1ELb1ES15_S16_S16_Li2ELi2ELi2ELb0ELb1ELb1ELi1ELi1ENSK_IJLi1ELi32ELi1ELi4EEEELi8ELi1ELNS_13LoopSchedulerE0ELNS_15PipelineVersionE0EEEaaaSW_SW_NS3_INS4_IJSA_SC_SC_NSD_INS4_IJiNS7_IiLi64EEEEEELb0EEENSD_INS4_IJiNS7_IiLi128EEEEEELb0EEEEEENS4_IJSL_SM_SN_SP_SO_EEENS4_IJSR_SP_SO_SS_NSK_IJLi7ELi8EEEEEEENSK_IJLi5ELi6ELi7ELi8EEEElEES14_S14_S14_NS_31BlockToCTileMap_M00_N0_M01AdaptILi64ELi128ES11_iEELb0EEEvPKT0_PKT1_PT2_T3_T4_T5_T6_T7_T8_T9_
	.p2align	8
	.type	_ZN2ck16kernel_gemm_wmmaINS_17GridwiseGemm_WmmaILi128EaaiiaLNS_25InMemoryDataOperationEnumE0ENS_16TensorDescriptorINS_5TupleIJNS_5EmbedINS4_IJiiEEENS4_IJiNS_17integral_constantIiLi1EEEEEELb0EEENS_8RightPadIiiLb0EEESC_NS_7UnMergeINS4_IJiNS7_IiLi2EEEEEELb0EEENS_11PassThroughIiEEEEENS4_IJNS_8SequenceIJLi0EEEENSK_IJLi1EEEENSK_IJLi2EEEENSK_IJLi4EEEENSK_IJLi3EEEEEEENS4_IJNSK_IJLi1ELi2EEEESP_SO_NSK_IJLi5ELi6EEEENSK_IJLi7EEEEEEENSK_IJLi5ELi7ELi6EEEElEESW_NS3_INS4_IJSA_SC_SC_EEENS4_IJSL_SM_SN_EEENS4_IJSR_SP_SO_EEENSK_IJLi3ELi4EEEElEENS_16tensor_operation12element_wise11PassThroughES14_S14_Li64ELi128ELi64ELi16ELi16ELi2ELi2ELi4ENSK_IJLi4ELi32ELi1EEEENSK_IJLi1ELi0ELi2EEEES16_Li2ELi2ELi2ELb0ELb1ELb1ES15_S16_S16_Li2ELi2ELi2ELb0ELb1ELb1ELi1ELi1ENSK_IJLi1ELi32ELi1ELi4EEEELi8ELi1ELNS_13LoopSchedulerE0ELNS_15PipelineVersionE0EEEaaaSW_SW_NS3_INS4_IJSA_SC_SC_NSD_INS4_IJiNS7_IiLi64EEEEEELb0EEENSD_INS4_IJiNS7_IiLi128EEEEEELb0EEEEEENS4_IJSL_SM_SN_SP_SO_EEENS4_IJSR_SP_SO_SS_NSK_IJLi7ELi8EEEEEEENSK_IJLi5ELi6ELi7ELi8EEEElEES14_S14_S14_NS_31BlockToCTileMap_M00_N0_M01AdaptILi64ELi128ES11_iEELb0EEEvPKT0_PKT1_PT2_T3_T4_T5_T6_T7_T8_T9_,@function
_ZN2ck16kernel_gemm_wmmaINS_17GridwiseGemm_WmmaILi128EaaiiaLNS_25InMemoryDataOperationEnumE0ENS_16TensorDescriptorINS_5TupleIJNS_5EmbedINS4_IJiiEEENS4_IJiNS_17integral_constantIiLi1EEEEEELb0EEENS_8RightPadIiiLb0EEESC_NS_7UnMergeINS4_IJiNS7_IiLi2EEEEEELb0EEENS_11PassThroughIiEEEEENS4_IJNS_8SequenceIJLi0EEEENSK_IJLi1EEEENSK_IJLi2EEEENSK_IJLi4EEEENSK_IJLi3EEEEEEENS4_IJNSK_IJLi1ELi2EEEESP_SO_NSK_IJLi5ELi6EEEENSK_IJLi7EEEEEEENSK_IJLi5ELi7ELi6EEEElEESW_NS3_INS4_IJSA_SC_SC_EEENS4_IJSL_SM_SN_EEENS4_IJSR_SP_SO_EEENSK_IJLi3ELi4EEEElEENS_16tensor_operation12element_wise11PassThroughES14_S14_Li64ELi128ELi64ELi16ELi16ELi2ELi2ELi4ENSK_IJLi4ELi32ELi1EEEENSK_IJLi1ELi0ELi2EEEES16_Li2ELi2ELi2ELb0ELb1ELb1ES15_S16_S16_Li2ELi2ELi2ELb0ELb1ELb1ELi1ELi1ENSK_IJLi1ELi32ELi1ELi4EEEELi8ELi1ELNS_13LoopSchedulerE0ELNS_15PipelineVersionE0EEEaaaSW_SW_NS3_INS4_IJSA_SC_SC_NSD_INS4_IJiNS7_IiLi64EEEEEELb0EEENSD_INS4_IJiNS7_IiLi128EEEEEELb0EEEEEENS4_IJSL_SM_SN_SP_SO_EEENS4_IJSR_SP_SO_SS_NSK_IJLi7ELi8EEEEEEENSK_IJLi5ELi6ELi7ELi8EEEElEES14_S14_S14_NS_31BlockToCTileMap_M00_N0_M01AdaptILi64ELi128ES11_iEELb0EEEvPKT0_PKT1_PT2_T3_T4_T5_T6_T7_T8_T9_: ; @_ZN2ck16kernel_gemm_wmmaINS_17GridwiseGemm_WmmaILi128EaaiiaLNS_25InMemoryDataOperationEnumE0ENS_16TensorDescriptorINS_5TupleIJNS_5EmbedINS4_IJiiEEENS4_IJiNS_17integral_constantIiLi1EEEEEELb0EEENS_8RightPadIiiLb0EEESC_NS_7UnMergeINS4_IJiNS7_IiLi2EEEEEELb0EEENS_11PassThroughIiEEEEENS4_IJNS_8SequenceIJLi0EEEENSK_IJLi1EEEENSK_IJLi2EEEENSK_IJLi4EEEENSK_IJLi3EEEEEEENS4_IJNSK_IJLi1ELi2EEEESP_SO_NSK_IJLi5ELi6EEEENSK_IJLi7EEEEEEENSK_IJLi5ELi7ELi6EEEElEESW_NS3_INS4_IJSA_SC_SC_EEENS4_IJSL_SM_SN_EEENS4_IJSR_SP_SO_EEENSK_IJLi3ELi4EEEElEENS_16tensor_operation12element_wise11PassThroughES14_S14_Li64ELi128ELi64ELi16ELi16ELi2ELi2ELi4ENSK_IJLi4ELi32ELi1EEEENSK_IJLi1ELi0ELi2EEEES16_Li2ELi2ELi2ELb0ELb1ELb1ES15_S16_S16_Li2ELi2ELi2ELb0ELb1ELb1ELi1ELi1ENSK_IJLi1ELi32ELi1ELi4EEEELi8ELi1ELNS_13LoopSchedulerE0ELNS_15PipelineVersionE0EEEaaaSW_SW_NS3_INS4_IJSA_SC_SC_NSD_INS4_IJiNS7_IiLi64EEEEEELb0EEENSD_INS4_IJiNS7_IiLi128EEEEEELb0EEEEEENS4_IJSL_SM_SN_SP_SO_EEENS4_IJSR_SP_SO_SS_NSK_IJLi7ELi8EEEEEEENSK_IJLi5ELi6ELi7ELi8EEEElEES14_S14_S14_NS_31BlockToCTileMap_M00_N0_M01AdaptILi64ELi128ES11_iEELb0EEEvPKT0_PKT1_PT2_T3_T4_T5_T6_T7_T8_T9_
; %bb.0:
	s_clause 0x2
	s_load_b64 s[2:3], s[0:1], 0xfc
	s_load_b32 s4, s[0:1], 0x104
	s_load_b32 s26, s[0:1], 0xf0
	s_abs_i32 s9, s15
	v_and_b32_e32 v11, 0xfc, v0
	v_lshrrev_b32_e32 v13, 1, v0
	s_load_b32 s16, s[0:1], 0x68
	s_mov_b32 s31, 0x31004000
	s_clause 0x2
	s_load_b32 s20, s[0:1], 0x74
	s_load_b32 s17, s[0:1], 0x80
	s_load_b32 s30, s[0:1], 0x58
	v_and_b32_e32 v65, 15, v0
	v_and_b32_e32 v15, 0x7e, v13
	v_bfe_u32 v67, v0, 1, 3
	v_lshrrev_b32_e32 v68, 2, v0
	v_lshlrev_b32_e32 v10, 3, v0
	s_load_b64 s[24:25], s[0:1], 0x10
	s_delay_alu instid0(VALU_DEP_1)
	v_and_b32_e32 v53, 24, v10
	s_waitcnt lgkmcnt(0)
	s_add_i32 s2, s2, 63
	s_addk_i32 s3, 0x7f
	s_ashr_i32 s5, s2, 31
	s_ashr_i32 s6, s3, 31
	s_lshr_b32 s5, s5, 26
	s_lshr_b32 s6, s6, 25
	s_add_i32 s2, s2, s5
	s_add_i32 s3, s3, s6
	s_ashr_i32 s5, s2, 6
	s_ashr_i32 s3, s3, 7
	v_lshlrev_b32_e32 v9, 1, v53
	s_mul_i32 s6, s3, s5
	s_delay_alu instid0(SALU_CYCLE_1) | instskip(NEXT) | instid1(SALU_CYCLE_1)
	s_abs_i32 s6, s6
	v_cvt_f32_u32_e32 v1, s6
	s_sub_i32 s8, 0, s6
	s_delay_alu instid0(VALU_DEP_1) | instskip(SKIP_2) | instid1(VALU_DEP_1)
	v_rcp_iflag_f32_e32 v1, v1
	s_waitcnt_depctr 0xfff
	v_mul_f32_e32 v1, 0x4f7ffffe, v1
	v_cvt_u32_f32_e32 v1, v1
	s_delay_alu instid0(VALU_DEP_1) | instskip(NEXT) | instid1(VALU_DEP_1)
	v_readfirstlane_b32 s7, v1
	s_mul_i32 s8, s8, s7
	s_delay_alu instid0(SALU_CYCLE_1) | instskip(NEXT) | instid1(SALU_CYCLE_1)
	s_mul_hi_u32 s8, s7, s8
	s_add_i32 s7, s7, s8
	s_ashr_i32 s8, s15, 31
	s_mul_hi_u32 s7, s9, s7
	s_delay_alu instid0(SALU_CYCLE_1) | instskip(NEXT) | instid1(SALU_CYCLE_1)
	s_mul_i32 s7, s7, s6
	s_sub_i32 s7, s9, s7
	s_delay_alu instid0(SALU_CYCLE_1) | instskip(SKIP_2) | instid1(SALU_CYCLE_1)
	s_sub_i32 s9, s7, s6
	s_cmp_ge_u32 s7, s6
	s_cselect_b32 s7, s9, s7
	s_sub_i32 s9, s7, s6
	s_cmp_ge_u32 s7, s6
	s_cselect_b32 s6, s9, s7
	s_abs_i32 s7, s3
	s_xor_b32 s6, s6, s8
	v_cvt_f32_u32_e32 v1, s7
	s_sub_i32 s10, 0, s7
	s_sub_i32 s6, s6, s8
	s_delay_alu instid0(VALU_DEP_1) | instskip(SKIP_2) | instid1(VALU_DEP_1)
	v_rcp_iflag_f32_e32 v1, v1
	s_waitcnt_depctr 0xfff
	v_mul_f32_e32 v1, 0x4f7ffffe, v1
	v_cvt_u32_f32_e32 v1, v1
	s_delay_alu instid0(VALU_DEP_1) | instskip(NEXT) | instid1(VALU_DEP_1)
	v_readfirstlane_b32 s9, v1
	s_mul_i32 s10, s10, s9
	s_delay_alu instid0(SALU_CYCLE_1) | instskip(SKIP_2) | instid1(SALU_CYCLE_1)
	s_mul_hi_u32 s8, s9, s10
	s_abs_i32 s10, s6
	s_add_i32 s9, s9, s8
	s_mul_hi_u32 s8, s10, s9
	s_xor_b32 s9, s6, s3
	s_mul_i32 s11, s8, s7
	s_ashr_i32 s9, s9, 31
	s_sub_i32 s10, s10, s11
	s_add_i32 s11, s8, 1
	s_sub_i32 s12, s10, s7
	s_cmp_ge_u32 s10, s7
	s_cselect_b32 s8, s11, s8
	s_cselect_b32 s10, s12, s10
	s_add_i32 s11, s8, 1
	s_cmp_ge_u32 s10, s7
	s_cselect_b32 s7, s11, s8
	s_abs_i32 s8, s4
	s_abs_i32 s12, s5
	v_cvt_f32_u32_e32 v1, s8
	s_sub_i32 s11, 0, s8
	s_xor_b32 s7, s7, s9
	s_ashr_i32 s2, s2, 31
	s_delay_alu instid0(VALU_DEP_1) | instskip(SKIP_2) | instid1(VALU_DEP_1)
	v_rcp_iflag_f32_e32 v1, v1
	s_waitcnt_depctr 0xfff
	v_mul_f32_e32 v1, 0x4f7ffffe, v1
	v_cvt_u32_f32_e32 v1, v1
	s_delay_alu instid0(VALU_DEP_1) | instskip(NEXT) | instid1(VALU_DEP_1)
	v_readfirstlane_b32 s10, v1
	s_mul_i32 s11, s11, s10
	s_delay_alu instid0(SALU_CYCLE_1) | instskip(NEXT) | instid1(SALU_CYCLE_1)
	s_mul_hi_u32 s11, s10, s11
	s_add_i32 s10, s10, s11
	s_delay_alu instid0(SALU_CYCLE_1) | instskip(NEXT) | instid1(SALU_CYCLE_1)
	s_mul_hi_u32 s11, s12, s10
	s_mul_i32 s11, s11, s8
	s_delay_alu instid0(SALU_CYCLE_1) | instskip(SKIP_4) | instid1(SALU_CYCLE_1)
	s_sub_i32 s11, s12, s11
	s_sub_i32 s12, s7, s9
	;; [unrolled: 1-line block ×3, first 2 shown]
	s_cmp_ge_u32 s11, s8
	s_cselect_b32 s7, s7, s11
	s_sub_i32 s9, s7, s8
	s_cmp_ge_u32 s7, s8
	s_cselect_b32 s7, s9, s7
	s_delay_alu instid0(SALU_CYCLE_1) | instskip(NEXT) | instid1(SALU_CYCLE_1)
	s_xor_b32 s7, s7, s2
	s_sub_i32 s2, s7, s2
	s_mul_i32 s7, s12, s3
	s_sub_i32 s5, s5, s2
	s_delay_alu instid0(SALU_CYCLE_1) | instskip(SKIP_4) | instid1(SALU_CYCLE_1)
	s_cmp_lt_i32 s12, s5
	s_cselect_b32 s2, s4, s2
	s_abs_i32 s4, s12
	s_sub_i32 s6, s6, s7
	s_mul_hi_u32 s5, s4, s10
	s_mul_i32 s5, s5, s8
	s_delay_alu instid0(SALU_CYCLE_1) | instskip(SKIP_4) | instid1(SALU_CYCLE_1)
	s_sub_i32 s4, s4, s5
	s_ashr_i32 s5, s12, 31
	s_sub_i32 s7, s4, s8
	s_cmp_ge_u32 s4, s8
	s_cselect_b32 s4, s7, s4
	s_sub_i32 s7, s4, s8
	s_cmp_ge_u32 s4, s8
	s_cselect_b32 s4, s7, s4
	s_abs_i32 s7, s2
	s_xor_b32 s4, s4, s5
	v_cvt_f32_u32_e32 v1, s7
	s_sub_i32 s13, s4, s5
	s_sub_i32 s4, 0, s7
	s_mul_i32 s3, s13, s3
	s_delay_alu instid0(VALU_DEP_1) | instskip(SKIP_1) | instid1(SALU_CYCLE_1)
	v_rcp_iflag_f32_e32 v1, v1
	s_add_i32 s3, s3, s6
	s_abs_i32 s5, s3
	s_xor_b32 s6, s3, s2
	s_delay_alu instid0(SALU_CYCLE_1) | instskip(SKIP_2) | instid1(VALU_DEP_1)
	s_ashr_i32 s15, s6, 31
	s_waitcnt_depctr 0xfff
	v_mul_f32_e32 v1, 0x4f7ffffe, v1
	v_cvt_u32_f32_e32 v1, v1
	s_delay_alu instid0(VALU_DEP_1) | instskip(NEXT) | instid1(VALU_DEP_1)
	v_readfirstlane_b32 s8, v1
	s_mul_i32 s4, s4, s8
	s_delay_alu instid0(SALU_CYCLE_1) | instskip(NEXT) | instid1(SALU_CYCLE_1)
	s_mul_hi_u32 s4, s8, s4
	s_add_i32 s4, s8, s4
	s_load_b128 s[8:11], s[0:1], 0x0
	s_mul_hi_u32 s4, s5, s4
	s_delay_alu instid0(SALU_CYCLE_1) | instskip(SKIP_2) | instid1(SALU_CYCLE_1)
	s_mul_i32 s14, s4, s7
	s_add_i32 s6, s4, 1
	s_sub_i32 s5, s5, s14
	s_sub_i32 s14, s5, s7
	s_cmp_ge_u32 s5, s7
	s_cselect_b32 s4, s6, s4
	s_cselect_b32 s5, s14, s5
	s_add_i32 s14, s4, 1
	s_cmp_ge_u32 s5, s7
	s_load_b32 s6, s[0:1], 0xa0
	s_cselect_b32 s4, s14, s4
	s_mov_b32 s7, s31
	s_xor_b32 s4, s4, s15
	s_sub_i32 s33, s12, s13
	s_sub_i32 s14, s4, s15
	s_waitcnt lgkmcnt(0)
	s_mov_b32 s4, s10
	s_lshl_b32 s27, s14, 7
	s_load_b32 s10, s[0:1], 0x20
	v_add_nc_u32_e32 v12, s27, v11
	s_mov_b32 s5, s11
	s_mul_i32 s14, s14, s2
	s_mov_b32 s28, s8
	s_sub_i32 s2, s3, s14
	v_mad_u64_u32 v[1:2], null, v12, s16, v[9:10]
	s_add_i32 s33, s33, s2
	s_mov_b32 s29, s9
	s_lshl_b32 s2, s33, 6
	s_delay_alu instid0(SALU_CYCLE_1)
	v_add_nc_u32_e32 v22, s2, v15
	s_clause 0x7
	buffer_load_u16 v14, v1, s[4:7], 0 offen
	buffer_load_u16 v16, v1, s[4:7], 0 offen offset:2
	buffer_load_u16 v17, v1, s[4:7], 0 offen offset:4
	;; [unrolled: 1-line block ×7, first 2 shown]
	s_waitcnt lgkmcnt(0)
	v_mad_u64_u32 v[2:3], null, v22, s10, v[9:10]
	v_add_nc_u32_e32 v1, s16, v1
	s_clause 0x1
	s_load_b32 s22, s[0:1], 0x2c
	s_load_b32 s12, s[0:1], 0x38
	buffer_load_u16 v24, v1, s[4:7], 0 offen
	s_clause 0x5
	buffer_load_u16 v25, v2, s[28:31], 0 offen
	buffer_load_u16 v26, v2, s[28:31], 0 offen offset:2
	buffer_load_u16 v27, v2, s[28:31], 0 offen offset:4
	;; [unrolled: 1-line block ×5, first 2 shown]
	v_add_nc_u32_e32 v3, 14, v1
	v_add_nc_u32_e32 v4, 12, v1
	;; [unrolled: 1-line block ×3, first 2 shown]
	s_clause 0x1
	buffer_load_u16 v31, v2, s[28:31], 0 offen offset:12
	buffer_load_u16 v32, v2, s[28:31], 0 offen offset:14
	s_clause 0x2
	buffer_load_u16 v33, v3, s[4:7], 0 offen
	buffer_load_u16 v34, v4, s[4:7], 0 offen
	;; [unrolled: 1-line block ×3, first 2 shown]
	v_add_nc_u32_e32 v3, 8, v1
	v_add_nc_u32_e32 v4, 6, v1
	;; [unrolled: 1-line block ×4, first 2 shown]
	v_and_or_b32 v10, v10, 8, v67
	s_clause 0x1
	buffer_load_u16 v36, v3, s[4:7], 0 offen
	buffer_load_u16 v37, v4, s[4:7], 0 offen
	v_add_nc_u32_e32 v3, 2, v1
	v_add_nc_u32_e32 v1, s16, v1
	s_clause 0x9
	buffer_load_u16 v38, v5, s[4:7], 0 offen
	buffer_load_u16 v39, v3, s[4:7], 0 offen
	;; [unrolled: 1-line block ×3, first 2 shown]
	buffer_load_u16 v41, v1, s[4:7], 0 offen offset:2
	buffer_load_u16 v42, v1, s[4:7], 0 offen offset:4
	;; [unrolled: 1-line block ×7, first 2 shown]
	v_add_nc_u32_e32 v4, 14, v2
	v_add_nc_u32_e32 v1, s16, v1
	v_add_nc_u32_e32 v5, 12, v2
	buffer_load_u16 v48, v2, s[28:31], 0 offen
	v_and_b32_e32 v67, 8, v13
	buffer_load_u16 v51, v4, s[28:31], 0 offen
	buffer_load_u16 v49, v1, s[4:7], 0 offen
	;; [unrolled: 1-line block ×3, first 2 shown]
	v_add_nc_u32_e32 v3, 2, v2
	v_add_nc_u32_e32 v6, 8, v2
	s_waitcnt lgkmcnt(0)
	v_cmp_gt_i32_e64 s21, s22, v22
	buffer_load_u16 v50, v3, s[28:31], 0 offen
	v_add_nc_u32_e32 v3, 10, v2
	s_clause 0x1
	buffer_load_u16 v54, v3, s[28:31], 0 offen
	buffer_load_u16 v55, v6, s[28:31], 0 offen
	v_add_nc_u32_e32 v4, 6, v2
	v_add_nc_u32_e32 v3, 14, v1
	;; [unrolled: 1-line block ×3, first 2 shown]
	s_clause 0x1
	buffer_load_u16 v56, v4, s[28:31], 0 offen
	buffer_load_u16 v57, v2, s[28:31], 0 offen
	v_add_nc_u32_e32 v2, 12, v1
	buffer_load_u16 v58, v3, s[4:7], 0 offen
	v_add_nc_u32_e32 v4, 10, v1
	s_clause 0x1
	buffer_load_u16 v60, v4, s[4:7], 0 offen
	buffer_load_u16 v59, v2, s[4:7], 0 offen
	v_add_nc_u32_e32 v3, 8, v1
	v_add_nc_u32_e32 v2, 6, v1
	;; [unrolled: 1-line block ×4, first 2 shown]
	s_clause 0x3
	buffer_load_u16 v61, v3, s[4:7], 0 offen
	buffer_load_u16 v62, v2, s[4:7], 0 offen
	;; [unrolled: 1-line block ×4, first 2 shown]
	s_mov_b32 s4, 0
	s_delay_alu instid0(SALU_CYCLE_1)
	s_mov_b32 s5, s4
	s_mov_b32 s6, s4
	;; [unrolled: 1-line block ×7, first 2 shown]
	v_dual_mov_b32 v1, s4 :: v_dual_and_b32 v66, 32, v0
	v_mov_b32_e32 v4, s7
	v_dual_mov_b32 v8, s11 :: v_dual_lshlrev_b32 v11, 1, v11
	s_delay_alu instid0(VALU_DEP_3) | instskip(SKIP_4) | instid1(VALU_DEP_4)
	v_lshl_or_b32 v138, v65, 1, v66
	v_and_b32_e32 v66, 0x60, v13
	v_dual_mov_b32 v2, s5 :: v_dual_lshlrev_b32 v15, 1, v15
	v_mov_b32_e32 v6, s9
	v_mad_u32_u24 v69, 0x102, v53, v11
	v_lshl_or_b32 v139, v10, 1, v66
	v_and_or_b32 v10, v68, 16, v67
	v_mad_u32_u24 v66, 0x82, v53, v15
	v_or_b32_e32 v11, 2, v9
	v_or_b32_e32 v15, 4, v9
	;; [unrolled: 1-line block ×7, first 2 shown]
	v_and_b32_e32 v13, 16, v13
	v_dual_mov_b32 v3, s6 :: v_dual_lshlrev_b32 v10, 5, v10
	v_mov_b32_e32 v5, s8
	v_mov_b32_e32 v7, s10
	v_cmp_gt_i32_e32 vcc_lo, s12, v9
	v_cmp_gt_i32_e64 s2, s17, v9
	v_cmp_gt_i32_e64 s3, s12, v11
	;; [unrolled: 1-line block ×16, first 2 shown]
	v_add_nc_u32_e32 v9, 1, v12
	v_or3_b32 v140, v10, v13, v65
	v_add_nc_u32_e32 v10, 2, v12
	v_add_nc_u32_e32 v11, 3, v12
	s_and_b32 s23, s2, s17
	v_cmp_gt_i32_e64 s18, s20, v9
	v_add_nc_u32_e32 v12, 1, v22
	v_cmp_gt_i32_e64 s19, s20, v10
	v_cmp_gt_i32_e64 s20, s20, v11
	v_add_nc_u32_e32 v73, 0x1344, v69
	v_add_nc_u32_e32 v74, 0x174c, v69
	v_cmp_gt_i32_e64 s22, s22, v12
	s_waitcnt vmcnt(47)
	v_cndmask_b32_e64 v9, 0, v14, s23
	s_and_b32 s23, s10, s17
	s_waitcnt vmcnt(46)
	v_cndmask_b32_e64 v10, 0, v16, s23
	s_and_b32 s23, s11, s17
	;; [unrolled: 3-line block ×3, first 2 shown]
	v_and_b32_e32 v17, 0xff, v9
	s_waitcnt vmcnt(44)
	v_cndmask_b32_e64 v12, 0, v18, s23
	s_and_b32 s23, s13, s17
	v_lshrrev_b16 v18, 8, v10
	s_waitcnt vmcnt(43)
	v_cndmask_b32_e64 v13, 0, v19, s23
	s_and_b32 s23, s14, s17
	v_lshrrev_b16 v19, 8, v11
	s_waitcnt vmcnt(42)
	v_cndmask_b32_e64 v14, 0, v20, s23
	s_and_b32 s23, s15, s17
	s_and_b32 s17, s16, s17
	v_lshrrev_b16 v20, 8, v12
	s_waitcnt vmcnt(40)
	v_cndmask_b32_e64 v16, 0, v23, s17
	s_and_b32 s17, s2, s18
	v_cndmask_b32_e64 v15, 0, v21, s23
	s_waitcnt vmcnt(39)
	v_cndmask_b32_e64 v24, 0, v24, s17
	s_and_b32 s17, vcc_lo, s21
	s_and_b32 vcc_lo, vcc_lo, s22
	s_waitcnt vmcnt(38)
	v_cndmask_b32_e64 v25, 0, v25, s17
	s_and_b32 s17, s3, s21
	v_lshrrev_b16 v21, 8, v13
	s_waitcnt vmcnt(37)
	v_cndmask_b32_e64 v26, 0, v26, s17
	s_and_b32 s17, s4, s21
	v_lshrrev_b16 v67, 8, v24
	s_waitcnt vmcnt(36)
	v_cndmask_b32_e64 v27, 0, v27, s17
	s_and_b32 s17, s5, s21
	v_and_b32_e32 v24, 0xff, v24
	s_waitcnt vmcnt(35)
	v_cndmask_b32_e64 v28, 0, v28, s17
	s_and_b32 s17, s6, s21
	v_lshrrev_b16 v22, 8, v14
	s_waitcnt vmcnt(34)
	v_cndmask_b32_e64 v29, 0, v29, s17
	s_and_b32 s17, s7, s21
	s_waitcnt vmcnt(15)
	v_cndmask_b32_e32 v48, 0, v48, vcc_lo
	v_cndmask_b32_e64 v30, 0, v30, s17
	s_and_b32 s17, s8, s21
	s_and_b32 vcc_lo, s2, s20
	v_cndmask_b32_e64 v31, 0, v31, s17
	s_and_b32 s17, s9, s21
	v_lshrrev_b16 v23, 8, v15
	v_cndmask_b32_e64 v32, 0, v32, s17
	s_and_b32 s17, s16, s18
	v_lshrrev_b16 v65, 8, v16
	v_cndmask_b32_e64 v33, 0, v33, s17
	s_and_b32 s17, s15, s18
	v_perm_b32 v25, v48, v25, 0x5040100
	v_cndmask_b32_e64 v34, 0, v34, s17
	s_and_b32 s17, s14, s18
	v_lshrrev_b16 v72, 8, v33
	v_cndmask_b32_e64 v35, 0, v35, s17
	s_and_b32 s17, s13, s18
	v_lshrrev_b16 v75, 8, v34
	;; [unrolled: 3-line block ×5, first 2 shown]
	v_cndmask_b32_e64 v39, 0, v39, s17
	v_perm_b32 v37, v37, v12, 0x5040100
	v_perm_b32 v36, v36, v13, 0x5040100
	;; [unrolled: 1-line block ×4, first 2 shown]
	v_lshrrev_b16 v80, 8, v39
	v_perm_b32 v39, v39, v10, 0x5040100
	s_waitcnt vmcnt(13)
	v_cndmask_b32_e32 v10, 0, v49, vcc_lo
	s_and_b32 vcc_lo, s3, s22
	s_and_b32 s17, s2, s19
	s_waitcnt vmcnt(11)
	v_cndmask_b32_e32 v12, 0, v50, vcc_lo
	s_and_b32 vcc_lo, s9, s22
	v_lshrrev_b16 v79, 8, v38
	v_cndmask_b32_e32 v13, 0, v51, vcc_lo
	s_and_b32 vcc_lo, s8, s22
	v_perm_b32 v38, v38, v11, 0x5040100
	v_cndmask_b32_e32 v14, 0, v52, vcc_lo
	s_and_b32 vcc_lo, s7, s22
	v_perm_b32 v11, v24, v17, 0x5040100
	s_waitcnt vmcnt(10)
	v_cndmask_b32_e32 v15, 0, v54, vcc_lo
	s_and_b32 vcc_lo, s6, s22
	v_cndmask_b32_e64 v40, 0, v40, s17
	s_waitcnt vmcnt(9)
	v_cndmask_b32_e32 v17, 0, v55, vcc_lo
	s_and_b32 vcc_lo, s5, s22
	s_and_b32 s17, s10, s19
	s_waitcnt vmcnt(8)
	v_cndmask_b32_e32 v24, 0, v56, vcc_lo
	s_and_b32 vcc_lo, s4, s22
	v_cndmask_b32_e64 v41, 0, v41, s17
	s_and_b32 s17, s11, s19
	ds_store_b16 v66, v26 offset:130
	ds_store_b16 v66, v12 offset:132
	s_waitcnt vmcnt(7)
	v_cndmask_b32_e32 v26, 0, v57, vcc_lo
	s_and_b32 vcc_lo, s16, s20
	v_cndmask_b32_e64 v42, 0, v42, s17
	s_and_b32 s17, s12, s19
	v_perm_b32 v16, v33, v16, 0x5040100
	s_waitcnt vmcnt(6)
	v_cndmask_b32_e32 v33, 0, v58, vcc_lo
	s_and_b32 vcc_lo, s15, s20
	v_cndmask_b32_e64 v43, 0, v43, s17
	s_and_b32 s17, s13, s19
	s_waitcnt vmcnt(4)
	v_cndmask_b32_e32 v48, 0, v59, vcc_lo
	s_and_b32 vcc_lo, s14, s20
	v_lshrrev_b16 v9, 8, v9
	v_cndmask_b32_e64 v44, 0, v44, s17
	s_and_b32 s17, s14, s19
	v_cndmask_b32_e32 v49, 0, v60, vcc_lo
	s_and_b32 vcc_lo, s13, s20
	v_cndmask_b32_e64 v45, 0, v45, s17
	s_and_b32 s17, s15, s19
	s_waitcnt vmcnt(3)
	v_cndmask_b32_e32 v50, 0, v61, vcc_lo
	s_and_b32 vcc_lo, s12, s20
	v_cndmask_b32_e64 v46, 0, v46, s17
	s_and_b32 s17, s16, s19
	v_perm_b32 v9, v67, v9, 0x5040100
	s_waitcnt vmcnt(2)
	v_cndmask_b32_e32 v51, 0, v62, vcc_lo
	v_perm_b32 v18, v80, v18, 0x5040100
	v_perm_b32 v19, v79, v19, 0x5040100
	;; [unrolled: 1-line block ×5, first 2 shown]
	v_cndmask_b32_e64 v47, 0, v47, s17
	v_perm_b32 v23, v75, v23, 0x5040100
	v_lshrrev_b16 v68, 8, v30
	v_perm_b32 v55, v72, v65, 0x5040100
	v_lshrrev_b16 v57, 8, v15
	;; [unrolled: 2-line block ×3, first 2 shown]
	v_lshrrev_b16 v81, 8, v43
	v_lshrrev_b16 v82, 8, v44
	;; [unrolled: 1-line block ×4, first 2 shown]
	v_pk_lshlrev_b16 v9, 8, v9 op_sel_hi:[0,1]
	v_perm_b32 v10, v10, v40, 0x5040100
	v_lshrrev_b16 v40, 8, v13
	v_lshrrev_b16 v56, 8, v14
	v_perm_b32 v27, v17, v29, 0x5040100
	v_perm_b32 v29, v15, v30, 0x5040100
	;; [unrolled: 1-line block ×4, first 2 shown]
	v_lshrrev_b16 v58, 8, v48
	v_lshrrev_b16 v17, 8, v49
	;; [unrolled: 1-line block ×4, first 2 shown]
	v_pk_lshlrev_b16 v13, 8, v18 op_sel_hi:[0,1]
	v_pk_lshlrev_b16 v18, 8, v19 op_sel_hi:[0,1]
	;; [unrolled: 1-line block ×5, first 2 shown]
	v_lshrrev_b16 v71, 8, v32
	v_lshrrev_b16 v85, 8, v47
	s_and_b32 vcc_lo, s11, s20
	v_lshrrev_b16 v32, 8, v33
	v_pk_lshlrev_b16 v23, 8, v23 op_sel_hi:[0,1]
	s_waitcnt vmcnt(1)
	v_cndmask_b32_e32 v52, 0, v63, vcc_lo
	s_and_b32 vcc_lo, s10, s20
	v_perm_b32 v21, v50, v44, 0x5040100
	v_pk_lshlrev_b16 v44, 8, v55 op_sel_hi:[0,1]
	ds_store_2addr_b32 v66, v25, v26 offset1:65
	v_perm_b32 v25, v57, v68, 0x5040100
	s_waitcnt vmcnt(0)
	v_cndmask_b32_e32 v54, 0, v64, vcc_lo
	v_or_b32_e32 v9, v9, v11
	v_perm_b32 v26, v56, v70, 0x5040100
	v_and_or_b32 v11, 0xff00ff, v39, v13
	v_and_or_b32 v13, 0xff00ff, v38, v18
	v_perm_b32 v18, v15, v81, 0x5040100
	v_and_or_b32 v15, 0xff00ff, v36, v20
	v_perm_b32 v20, v59, v82, 0x5040100
	v_perm_b32 v36, v17, v83, 0x5040100
	v_and_or_b32 v17, 0xff00ff, v35, v22
	v_perm_b32 v22, v58, v84, 0x5040100
	v_perm_b32 v40, v40, v71, 0x5040100
	v_and_or_b32 v37, 0xff00ff, v37, v19
	v_and_or_b32 v19, 0xff00ff, v34, v23
	v_perm_b32 v23, v32, v85, 0x5040100
	v_and_or_b32 v32, 0xff00ff, v16, v44
	v_pk_lshlrev_b16 v16, 8, v25 op_sel_hi:[0,1]
	v_perm_b32 v12, v54, v41, 0x5040100
	v_perm_b32 v41, v51, v43, 0x5040100
	;; [unrolled: 1-line block ×3, first 2 shown]
	v_pk_lshlrev_b16 v25, 8, v26 op_sel_hi:[0,1]
	v_pk_lshlrev_b16 v18, 8, v18 op_sel_hi:[0,1]
	;; [unrolled: 1-line block ×4, first 2 shown]
	v_perm_b32 v14, v52, v42, 0x5040100
	v_perm_b32 v42, v49, v45, 0x5040100
	v_perm_b32 v33, v33, v47, 0x5040100
	v_pk_lshlrev_b16 v26, 8, v40 op_sel_hi:[0,1]
	v_pk_lshlrev_b16 v34, 8, v36 op_sel_hi:[0,1]
	;; [unrolled: 1-line block ×3, first 2 shown]
	v_and_or_b32 v29, 0xff00ff, v29, v16
	v_and_or_b32 v25, 0xff00ff, v30, v25
	;; [unrolled: 1-line block ×8, first 2 shown]
	ds_store_b16 v66, v28 offset:390
	ds_store_b16 v66, v24 offset:392
	ds_store_b32 v66, v27 offset:520
	ds_store_b32 v66, v29 offset:650
	;; [unrolled: 1-line block ×4, first 2 shown]
	ds_store_b64 v69, v[9:10] offset:4158
	ds_store_b64 v69, v[11:12] offset:4416
	;; [unrolled: 1-line block ×6, first 2 shown]
	ds_store_2addr_b32 v73, v37, v30 offset1:1
	ds_store_2addr_b32 v74, v32, v21 offset1:1
	s_waitcnt lgkmcnt(0)
	s_barrier
	ds_load_u16 v102, v139
	ds_load_u16 v71, v138 offset:4674
	ds_load_u16 v109, v139 offset:3900
	;; [unrolled: 1-line block ×59, first 2 shown]
	s_waitcnt lgkmcnt(49)
	ds_load_u16_d16_hi v97, v139 offset:974
	ds_load_u16_d16_hi v110, v139 offset:1170
	;; [unrolled: 1-line block ×3, first 2 shown]
	ds_load_u16 v94, v139 offset:64
	ds_load_u16 v114, v138 offset:4222
	s_waitcnt lgkmcnt(30)
	ds_load_u16_d16_hi v70, v138 offset:4416
	ds_load_u16 v123, v138 offset:4866
	ds_load_u16_d16_hi v71, v138 offset:4932
	s_waitcnt lgkmcnt(32)
	ds_load_u16_d16_hi v28, v139 offset:4094
	ds_load_u16_d16_hi v78, v138 offset:4544
	;; [unrolled: 1-line block ×5, first 2 shown]
	ds_load_u16 v124, v138 offset:5382
	ds_load_u16 v116, v138 offset:5254
	ds_load_u16_d16_hi v73, v138 offset:5964
	ds_load_u16_d16_hi v81, v138 offset:6092
	ds_load_u16 v125, v138 offset:5898
	ds_load_u16 v117, v138 offset:5770
	;; [unrolled: 1-line block ×3, first 2 shown]
	ds_load_u16_d16_hi v122, v138 offset:4608
	s_waitcnt lgkmcnt(23)
	ds_load_u16_d16_hi v103, v139 offset:390
	ds_load_u16_d16_hi v102, v139 offset:130
	;; [unrolled: 1-line block ×4, first 2 shown]
	ds_load_u16 v21, v139 offset:1104
	s_waitcnt lgkmcnt(26)
	ds_load_u16_d16_hi v105, v139 offset:910
	ds_load_u16_d16_hi v109, v139 offset:4030
	s_waitcnt lgkmcnt(23)
	ds_load_u16_d16_hi v114, v138 offset:4480
	s_waitcnt lgkmcnt(22)
	ds_load_u16_d16_hi v123, v138 offset:5124
	ds_load_u16_d16_hi v94, v139 offset:194
	;; [unrolled: 1-line block ×3, first 2 shown]
	ds_load_u16 v18, v138 offset:6738
	ds_load_u16_d16_hi v49, v138 offset:6608
	ds_load_u16_d16_hi v17, v138 offset:6480
	ds_load_u16_d16_hi v104, v139 offset:650
	s_waitcnt lgkmcnt(21)
	ds_load_u16_d16_hi v116, v138 offset:5512
	ds_load_u16_d16_hi v124, v138 offset:5640
	ds_load_u16 v41, v138 offset:6286
	s_waitcnt lgkmcnt(21)
	ds_load_u16_d16_hi v125, v138 offset:6156
	s_waitcnt lgkmcnt(21)
	ds_load_u16_d16_hi v117, v138 offset:6028
	ds_load_u16 v39, v138 offset:11382
	ds_load_u16 v132, v138 offset:11510
	;; [unrolled: 1-line block ×10, first 2 shown]
	s_waitcnt lgkmcnt(19)
	v_wmma_i32_16x16x16_iu8 v[9:16], v[94:97], v[70:73], v[1:8] neg_lo:[1,1,0]
	v_wmma_i32_16x16x16_iu8 v[54:61], v[94:97], v[78:81], v[1:8] neg_lo:[1,1,0]
	s_waitcnt lgkmcnt(15)
	v_wmma_i32_16x16x16_iu8 v[62:69], v[102:105], v[70:73], v[1:8] neg_lo:[1,1,0]
	v_wmma_i32_16x16x16_iu8 v[70:77], v[102:105], v[78:81], v[1:8] neg_lo:[1,1,0]
	;; [unrolled: 3-line block ×3, first 2 shown]
	v_wmma_i32_16x16x16_iu8 v[94:101], v[102:105], v[122:125], v[1:8] neg_lo:[1,1,0]
	v_wmma_i32_16x16x16_iu8 v[1:8], v[102:105], v[114:117], v[1:8] neg_lo:[1,1,0]
	ds_load_u16 v103, v138 offset:8866
	ds_load_u16 v115, v138 offset:8994
	;; [unrolled: 1-line block ×7, first 2 shown]
	ds_load_u16_d16_hi v21, v139 offset:1234
	ds_load_u16_d16_hi v112, v139 offset:1690
	;; [unrolled: 1-line block ×12, first 2 shown]
	ds_load_u16 v26, v139 offset:3444
	ds_load_u16_d16_hi v25, v139 offset:3314
	ds_load_u16_d16_hi v120, v139 offset:2730
	;; [unrolled: 1-line block ×5, first 2 shown]
	ds_load_u16 v135, v138 offset:6930
	ds_load_u16_d16_hi v18, v138 offset:6996
	ds_load_u16_d16_hi v41, v138 offset:6544
	;; [unrolled: 1-line block ×10, first 2 shown]
	ds_load_u16 v104, v138 offset:9382
	ds_load_u16 v116, v138 offset:9510
	ds_load_u16_d16_hi v35, v138 offset:9576
	ds_load_u16_d16_hi v126, v138 offset:8672
	ds_load_u16_d16_hi v128, v138 offset:9704
	ds_load_u16_d16_hi v34, v138 offset:9060
	ds_load_u16_d16_hi v129, v138 offset:10220
	ds_load_u16_d16_hi v36, v138 offset:10092
	s_waitcnt lgkmcnt(48)
	ds_load_u16_d16_hi v130, v138 offset:10736
	ds_load_u16_d16_hi v33, v138 offset:8544
	ds_load_u16_d16_hi v132, v138 offset:11768
	ds_load_u16_d16_hi v27, v139 offset:3834
	ds_load_u16_d16_hi v108, v139 offset:3770
	s_waitcnt lgkmcnt(29)
	ds_load_u16_d16_hi v26, v139 offset:3574
	ds_load_u16_d16_hi v131, v138 offset:11252
	;; [unrolled: 1-line block ×3, first 2 shown]
	ds_load_u16 v123, v138 offset:11058
	ds_load_u16_d16_hi v37, v138 offset:10608
	ds_load_u16 v122, v138 offset:10542
	ds_load_u16_d16_hi v39, v138 offset:11640
	;; [unrolled: 2-line block ×3, first 2 shown]
	ds_load_u16_d16_hi v40, v138 offset:12156
	ds_load_u16 v125, v138 offset:12090
	s_waitcnt lgkmcnt(34)
	ds_load_u16_d16_hi v135, v138 offset:7188
	ds_load_u16_d16_hi v43, v138 offset:7576
	;; [unrolled: 1-line block ×9, first 2 shown]
	s_waitcnt lgkmcnt(32)
	ds_load_u16_d16_hi v104, v138 offset:9640
	s_waitcnt lgkmcnt(32)
	ds_load_u16_d16_hi v116, v138 offset:9768
	ds_load_u16_d16_hi v105, v138 offset:10156
	v_wmma_i32_16x16x16_iu8 v[62:69], v[110:113], v[17:20], v[62:69] neg_lo:[1,1,0]
	ds_load_u16_d16_hi v117, v138 offset:10284
	ds_load_u16_d16_hi v45, v138 offset:10672
	s_waitcnt lgkmcnt(19)
	ds_load_u16_d16_hi v122, v138 offset:10800
	ds_load_u16_d16_hi v46, v138 offset:11188
	;; [unrolled: 1-line block ×4, first 2 shown]
	s_waitcnt lgkmcnt(21)
	ds_load_u16_d16_hi v124, v138 offset:11832
	v_lshlrev_b32_e32 v139, 2, v140
	ds_load_u16_d16_hi v48, v138 offset:12220
	s_waitcnt lgkmcnt(20)
	ds_load_u16_d16_hi v125, v138 offset:12348
	v_wmma_i32_16x16x16_iu8 v[62:69], v[118:121], v[33:36], v[62:69] neg_lo:[1,1,0]
	v_lshrrev_b32_e32 v138, 7, v0
	v_bfe_u32 v0, v0, 2, 5
	s_waitcnt lgkmcnt(0)
	s_barrier
	v_wmma_i32_16x16x16_iu8 v[62:69], v[106:109], v[37:40], v[62:69] neg_lo:[1,1,0]
	v_wmma_i32_16x16x16_iu8 v[1:8], v[110:113], v[41:44], v[1:8] neg_lo:[1,1,0]
	;; [unrolled: 1-line block ×5, first 2 shown]
	ds_store_2addr_b32 v139, v62, v63 offset1:32
	v_lshlrev_b32_e32 v62, 10, v138
	v_lshlrev_b32_e32 v63, 5, v0
	ds_store_2addr_b32 v139, v64, v65 offset0:64 offset1:96
	ds_store_2addr_b32 v139, v66, v67 offset0:128 offset1:160
	;; [unrolled: 1-line block ×3, first 2 shown]
	s_waitcnt lgkmcnt(0)
	s_barrier
	v_wmma_i32_16x16x16_iu8 v[1:8], v[118:121], v[102:105], v[1:8] neg_lo:[1,1,0]
	v_or3_b32 v62, v63, v62, v53
	v_or_b32_e32 v53, s27, v53
	s_mov_b32 s27, s31
	v_wmma_i32_16x16x16_iu8 v[70:77], v[118:121], v[126:129], v[70:77] neg_lo:[1,1,0]
	v_wmma_i32_16x16x16_iu8 v[1:8], v[106:109], v[45:48], v[1:8] neg_lo:[1,1,0]
	v_lshlrev_b32_e32 v140, 2, v62
	ds_load_b128 v[62:65], v140 offset:16
	ds_load_b128 v[66:69], v140
	s_clause 0x2
	s_load_b32 s3, s[0:1], 0xc8
	s_load_b32 s5, s[0:1], 0xbc
	;; [unrolled: 1-line block ×3, first 2 shown]
	v_wmma_i32_16x16x16_iu8 v[70:77], v[106:109], v[130:133], v[70:77] neg_lo:[1,1,0]
	v_wmma_i32_16x16x16_iu8 v[94:101], v[118:121], v[114:117], v[94:101] neg_lo:[1,1,0]
	;; [unrolled: 1-line block ×5, first 2 shown]
	s_delay_alu instid0(VALU_DEP_4) | instskip(NEXT) | instid1(VALU_DEP_4)
	v_wmma_i32_16x16x16_iu8 v[94:101], v[106:109], v[122:125], v[94:101] neg_lo:[1,1,0]
	v_wmma_i32_16x16x16_iu8 v[86:93], v[25:28], v[122:125], v[86:93] neg_lo:[1,1,0]
	s_delay_alu instid0(VALU_DEP_4) | instskip(NEXT) | instid1(VALU_DEP_4)
	v_wmma_i32_16x16x16_iu8 v[78:85], v[29:32], v[102:105], v[78:85] neg_lo:[1,1,0]
	v_wmma_i32_16x16x16_iu8 v[9:16], v[29:32], v[33:36], v[9:16] neg_lo:[1,1,0]
	s_delay_alu instid0(VALU_DEP_2) | instskip(NEXT) | instid1(VALU_DEP_2)
	v_wmma_i32_16x16x16_iu8 v[78:85], v[25:28], v[45:48], v[78:85] neg_lo:[1,1,0]
	v_wmma_i32_16x16x16_iu8 v[9:16], v[25:28], v[37:40], v[9:16] neg_lo:[1,1,0]
	s_waitcnt lgkmcnt(0)
	v_lshlrev_b16 v63, 8, v63
	v_and_b32_e32 v62, 0xff, v62
	v_lshlrev_b16 v65, 8, v65
	v_and_b32_e32 v64, 0xff, v64
	;; [unrolled: 2-line block ×3, first 2 shown]
	v_or_b32_e32 v62, v62, v63
	v_add_nc_u32_e32 v63, s33, v138
	v_or_b32_e32 v64, v64, v65
	v_lshlrev_b16 v69, 8, v69
	v_or_b32_e32 v65, v66, v67
	v_and_b32_e32 v68, 0xff, v68
	v_lshl_or_b32 v67, v63, 6, v0
	v_cmp_gt_i32_e32 vcc_lo, s3, v53
	v_and_b32_e32 v0, 0xffff, v62
	v_lshlrev_b32_e32 v64, 16, v64
	v_or_b32_e32 v66, v68, v69
	v_cmp_gt_i32_e64 s1, s5, v67
	v_mad_u64_u32 v[62:63], null, v67, s4, v[53:54]
	v_and_b32_e32 v65, 0xffff, v65
	s_delay_alu instid0(VALU_DEP_4) | instskip(NEXT) | instid1(VALU_DEP_4)
	v_lshlrev_b32_e32 v66, 16, v66
	s_and_b32 s0, vcc_lo, s1
	v_or_b32_e32 v64, v0, v64
	v_cndmask_b32_e64 v68, 0x80000000, 0, s0
	v_wmma_i32_16x16x16_iu8 v[54:61], v[21:24], v[49:52], v[54:61] neg_lo:[1,1,0]
	v_or_b32_e32 v63, v65, v66
	s_lshl_b32 s4, s4, 5
	s_delay_alu instid0(VALU_DEP_3) | instskip(NEXT) | instid1(VALU_DEP_3)
	v_add_nc_u32_e32 v0, v68, v62
	v_wmma_i32_16x16x16_iu8 v[54:61], v[29:32], v[126:129], v[54:61] neg_lo:[1,1,0]
	buffer_store_b64 v[63:64], v0, s[24:27], 0 offen
	s_waitcnt lgkmcnt(0)
	s_waitcnt_vscnt null, 0x0
	s_barrier
	ds_store_2addr_b32 v139, v1, v2 offset1:32
	ds_store_2addr_b32 v139, v3, v4 offset0:64 offset1:96
	ds_store_2addr_b32 v139, v5, v6 offset0:128 offset1:160
	;; [unrolled: 1-line block ×3, first 2 shown]
	s_waitcnt lgkmcnt(0)
	s_barrier
	ds_load_b128 v[0:3], v140 offset:16
	ds_load_b128 v[4:7], v140
	v_or_b32_e32 v8, 64, v53
	v_wmma_i32_16x16x16_iu8 v[54:61], v[25:28], v[130:133], v[54:61] neg_lo:[1,1,0]
	s_waitcnt lgkmcnt(1)
	v_lshlrev_b16 v1, 8, v1
	v_and_b32_e32 v0, 0xff, v0
	v_lshlrev_b16 v3, 8, v3
	v_and_b32_e32 v2, 0xff, v2
	s_waitcnt lgkmcnt(0)
	v_lshlrev_b16 v5, 8, v5
	v_and_b32_e32 v4, 0xff, v4
	v_or_b32_e32 v0, v0, v1
	v_or_b32_e32 v1, 32, v53
	v_lshlrev_b16 v7, 8, v7
	v_and_b32_e32 v6, 0xff, v6
	v_or_b32_e32 v2, v2, v3
	v_or_b32_e32 v3, v4, v5
	v_cmp_gt_i32_e64 s0, s3, v1
	v_and_b32_e32 v0, 0xffff, v0
	v_or_b32_e32 v4, v6, v7
	v_lshlrev_b32_e32 v1, 16, v2
	v_and_b32_e32 v2, 0xffff, v3
	s_and_b32 s2, s1, s0
	s_delay_alu instid0(VALU_DEP_3)
	v_lshlrev_b32_e32 v3, 16, v4
	v_cndmask_b32_e64 v4, 0x80000000, 0, s2
	v_or_b32_e32 v1, v0, v1
	v_cmp_gt_i32_e64 s2, s3, v8
	v_or_b32_e32 v8, 0x60, v53
	v_or_b32_e32 v0, v2, v3
	v_add_nc_u32_e32 v2, v62, v4
	v_or_b32_e32 v53, 32, v67
	s_and_b32 s6, s1, s2
	v_cmp_gt_i32_e64 s3, s3, v8
	v_add_nc_u32_e32 v8, 0x60, v62
	buffer_store_b64 v[0:1], v2, s[24:27], 0 offen offset:32
	s_waitcnt lgkmcnt(0)
	s_waitcnt_vscnt null, 0x0
	s_barrier
	ds_store_2addr_b32 v139, v70, v71 offset1:32
	ds_store_2addr_b32 v139, v72, v73 offset0:64 offset1:96
	ds_store_2addr_b32 v139, v74, v75 offset0:128 offset1:160
	;; [unrolled: 1-line block ×3, first 2 shown]
	s_waitcnt lgkmcnt(0)
	s_barrier
	ds_load_b128 v[0:3], v140 offset:16
	ds_load_b128 v[4:7], v140
	s_and_b32 s1, s1, s3
	s_waitcnt lgkmcnt(1)
	v_lshlrev_b16 v1, 8, v1
	v_and_b32_e32 v0, 0xff, v0
	v_lshlrev_b16 v3, 8, v3
	v_and_b32_e32 v2, 0xff, v2
	s_waitcnt lgkmcnt(0)
	v_lshlrev_b16 v5, 8, v5
	v_and_b32_e32 v4, 0xff, v4
	v_lshlrev_b16 v7, 8, v7
	v_and_b32_e32 v6, 0xff, v6
	v_or_b32_e32 v0, v0, v1
	v_or_b32_e32 v1, v2, v3
	;; [unrolled: 1-line block ×3, first 2 shown]
	v_cndmask_b32_e64 v4, 0x80000000, 0, s6
	v_or_b32_e32 v3, v6, v7
	v_and_b32_e32 v0, 0xffff, v0
	v_lshlrev_b32_e32 v1, 16, v1
	v_and_b32_e32 v2, 0xffff, v2
	s_delay_alu instid0(VALU_DEP_4) | instskip(NEXT) | instid1(VALU_DEP_3)
	v_lshlrev_b32_e32 v3, 16, v3
	v_or_b32_e32 v1, v0, v1
	s_delay_alu instid0(VALU_DEP_2)
	v_or_b32_e32 v0, v2, v3
	v_add_nc_u32_e32 v2, v62, v4
	buffer_store_b64 v[0:1], v2, s[24:27], 0 offen offset:64
	s_waitcnt lgkmcnt(0)
	s_waitcnt_vscnt null, 0x0
	s_barrier
	ds_store_2addr_b32 v139, v94, v95 offset1:32
	ds_store_2addr_b32 v139, v96, v97 offset0:64 offset1:96
	ds_store_2addr_b32 v139, v98, v99 offset0:128 offset1:160
	;; [unrolled: 1-line block ×3, first 2 shown]
	s_waitcnt lgkmcnt(0)
	s_barrier
	ds_load_b128 v[0:3], v140 offset:16
	ds_load_b128 v[4:7], v140
	s_waitcnt lgkmcnt(1)
	v_lshlrev_b16 v1, 8, v1
	v_and_b32_e32 v0, 0xff, v0
	v_lshlrev_b16 v3, 8, v3
	v_and_b32_e32 v2, 0xff, v2
	s_waitcnt lgkmcnt(0)
	v_lshlrev_b16 v5, 8, v5
	v_and_b32_e32 v4, 0xff, v4
	v_lshlrev_b16 v7, 8, v7
	v_and_b32_e32 v6, 0xff, v6
	v_or_b32_e32 v0, v0, v1
	v_or_b32_e32 v1, v2, v3
	;; [unrolled: 1-line block ×3, first 2 shown]
	v_cndmask_b32_e64 v2, 0x80000000, 0, s1
	v_or_b32_e32 v4, v6, v7
	v_and_b32_e32 v0, 0xffff, v0
	v_lshlrev_b32_e32 v1, 16, v1
	v_and_b32_e32 v3, 0xffff, v3
	v_add_nc_u32_e32 v2, v2, v8
	v_lshlrev_b32_e32 v4, 16, v4
	v_cmp_gt_i32_e64 s1, s5, v53
	v_or_b32_e32 v1, v0, v1
	v_add_nc_u32_e32 v8, s4, v8
	s_delay_alu instid0(VALU_DEP_4) | instskip(NEXT) | instid1(VALU_DEP_4)
	v_or_b32_e32 v0, v3, v4
	s_and_b32 s3, s3, s1
	s_and_b32 s2, s2, s1
	v_cndmask_b32_e64 v53, 0x80000000, 0, s3
	v_cndmask_b32_e64 v49, 0x80000000, 0, s2
	buffer_store_b64 v[0:1], v2, s[24:27], 0 offen
	s_waitcnt lgkmcnt(0)
	s_waitcnt_vscnt null, 0x0
	s_barrier
	ds_store_2addr_b32 v139, v86, v87 offset1:32
	ds_store_2addr_b32 v139, v88, v89 offset0:64 offset1:96
	ds_store_2addr_b32 v139, v90, v91 offset0:128 offset1:160
	;; [unrolled: 1-line block ×3, first 2 shown]
	s_waitcnt lgkmcnt(0)
	s_barrier
	ds_load_b128 v[0:3], v140 offset:16
	ds_load_b128 v[4:7], v140
	s_and_b32 s0, s0, s1
	s_delay_alu instid0(SALU_CYCLE_1)
	v_cndmask_b32_e64 v41, 0x80000000, 0, s0
	s_and_b32 s0, vcc_lo, s1
	s_waitcnt lgkmcnt(1)
	v_lshlrev_b16 v1, 8, v1
	v_and_b32_e32 v0, 0xff, v0
	v_lshlrev_b16 v3, 8, v3
	v_and_b32_e32 v2, 0xff, v2
	s_waitcnt lgkmcnt(0)
	v_lshlrev_b16 v5, 8, v5
	v_and_b32_e32 v4, 0xff, v4
	v_lshlrev_b16 v7, 8, v7
	v_and_b32_e32 v6, 0xff, v6
	v_or_b32_e32 v0, v0, v1
	v_or_b32_e32 v1, v2, v3
	;; [unrolled: 1-line block ×3, first 2 shown]
	v_add_nc_u32_e32 v4, v53, v8
	v_or_b32_e32 v3, v6, v7
	v_and_b32_e32 v0, 0xffff, v0
	v_lshlrev_b32_e32 v1, 16, v1
	v_and_b32_e32 v2, 0xffff, v2
	s_delay_alu instid0(VALU_DEP_4) | instskip(NEXT) | instid1(VALU_DEP_3)
	v_lshlrev_b32_e32 v3, 16, v3
	v_or_b32_e32 v1, v0, v1
	s_delay_alu instid0(VALU_DEP_2)
	v_or_b32_e32 v0, v2, v3
	buffer_store_b64 v[0:1], v4, s[24:27], 0 offen
	s_waitcnt lgkmcnt(0)
	s_waitcnt_vscnt null, 0x0
	s_barrier
	ds_store_2addr_b32 v139, v54, v55 offset1:32
	ds_store_2addr_b32 v139, v56, v57 offset0:64 offset1:96
	ds_store_2addr_b32 v139, v58, v59 offset0:128 offset1:160
	;; [unrolled: 1-line block ×3, first 2 shown]
	s_waitcnt lgkmcnt(0)
	s_barrier
	ds_load_b128 v[0:3], v140 offset:16
	ds_load_b128 v[4:7], v140
	s_waitcnt lgkmcnt(1)
	v_lshlrev_b16 v1, 8, v1
	v_and_b32_e32 v0, 0xff, v0
	v_lshlrev_b16 v3, 8, v3
	v_and_b32_e32 v2, 0xff, v2
	s_waitcnt lgkmcnt(0)
	v_lshlrev_b16 v5, 8, v5
	v_and_b32_e32 v4, 0xff, v4
	v_lshlrev_b16 v7, 8, v7
	v_and_b32_e32 v6, 0xff, v6
	v_or_b32_e32 v0, v0, v1
	v_or_b32_e32 v1, v2, v3
	;; [unrolled: 1-line block ×3, first 2 shown]
	v_add3_u32 v4, v8, v49, 0xffffffe0
	v_or_b32_e32 v3, v6, v7
	v_and_b32_e32 v0, 0xffff, v0
	v_lshlrev_b32_e32 v1, 16, v1
	v_and_b32_e32 v2, 0xffff, v2
	s_delay_alu instid0(VALU_DEP_4) | instskip(NEXT) | instid1(VALU_DEP_3)
	v_lshlrev_b32_e32 v3, 16, v3
	v_or_b32_e32 v1, v0, v1
	s_delay_alu instid0(VALU_DEP_2)
	v_or_b32_e32 v0, v2, v3
	buffer_store_b64 v[0:1], v4, s[24:27], 0 offen
	s_waitcnt lgkmcnt(0)
	s_waitcnt_vscnt null, 0x0
	s_barrier
	ds_store_2addr_b32 v139, v78, v79 offset1:32
	ds_store_2addr_b32 v139, v80, v81 offset0:64 offset1:96
	ds_store_2addr_b32 v139, v82, v83 offset0:128 offset1:160
	;; [unrolled: 1-line block ×3, first 2 shown]
	s_waitcnt lgkmcnt(0)
	s_barrier
	ds_load_b128 v[0:3], v140 offset:16
	ds_load_b128 v[4:7], v140
	s_waitcnt lgkmcnt(1)
	v_lshlrev_b16 v1, 8, v1
	v_and_b32_e32 v0, 0xff, v0
	v_lshlrev_b16 v3, 8, v3
	v_and_b32_e32 v2, 0xff, v2
	s_waitcnt lgkmcnt(0)
	v_lshlrev_b16 v5, 8, v5
	v_and_b32_e32 v4, 0xff, v4
	v_lshlrev_b16 v7, 8, v7
	v_and_b32_e32 v6, 0xff, v6
	v_or_b32_e32 v0, v0, v1
	v_or_b32_e32 v1, v2, v3
	;; [unrolled: 1-line block ×3, first 2 shown]
	v_add3_u32 v4, v8, v41, 0xffffffc0
	v_or_b32_e32 v3, v6, v7
	v_and_b32_e32 v0, 0xffff, v0
	v_lshlrev_b32_e32 v1, 16, v1
	v_and_b32_e32 v2, 0xffff, v2
	s_delay_alu instid0(VALU_DEP_4) | instskip(NEXT) | instid1(VALU_DEP_3)
	v_lshlrev_b32_e32 v3, 16, v3
	v_or_b32_e32 v1, v0, v1
	s_delay_alu instid0(VALU_DEP_2)
	v_or_b32_e32 v0, v2, v3
	buffer_store_b64 v[0:1], v4, s[24:27], 0 offen
	s_waitcnt lgkmcnt(0)
	s_waitcnt_vscnt null, 0x0
	s_barrier
	ds_store_2addr_b32 v139, v9, v10 offset1:32
	ds_store_2addr_b32 v139, v11, v12 offset0:64 offset1:96
	ds_store_2addr_b32 v139, v13, v14 offset0:128 offset1:160
	;; [unrolled: 1-line block ×3, first 2 shown]
	s_waitcnt lgkmcnt(0)
	s_barrier
	ds_load_b128 v[0:3], v140 offset:16
	ds_load_b128 v[4:7], v140
	s_waitcnt lgkmcnt(1)
	v_lshlrev_b16 v1, 8, v1
	v_and_b32_e32 v0, 0xff, v0
	v_lshlrev_b16 v3, 8, v3
	v_and_b32_e32 v2, 0xff, v2
	s_waitcnt lgkmcnt(0)
	v_lshlrev_b16 v5, 8, v5
	v_and_b32_e32 v4, 0xff, v4
	v_lshlrev_b16 v7, 8, v7
	v_and_b32_e32 v6, 0xff, v6
	v_or_b32_e32 v0, v0, v1
	v_or_b32_e32 v1, v2, v3
	;; [unrolled: 1-line block ×3, first 2 shown]
	v_cndmask_b32_e64 v4, 0x80000000, 0, s0
	v_or_b32_e32 v3, v6, v7
	v_and_b32_e32 v0, 0xffff, v0
	v_lshlrev_b32_e32 v1, 16, v1
	v_and_b32_e32 v2, 0xffff, v2
	s_delay_alu instid0(VALU_DEP_4) | instskip(NEXT) | instid1(VALU_DEP_3)
	v_lshlrev_b32_e32 v3, 16, v3
	v_or_b32_e32 v1, v0, v1
	s_delay_alu instid0(VALU_DEP_2)
	v_or_b32_e32 v0, v2, v3
	v_add3_u32 v2, v62, s4, v4
	buffer_store_b64 v[0:1], v2, s[24:27], 0 offen
	s_nop 0
	s_sendmsg sendmsg(MSG_DEALLOC_VGPRS)
	s_endpgm
	.section	.rodata,"a",@progbits
	.p2align	6, 0x0
	.amdhsa_kernel _ZN2ck16kernel_gemm_wmmaINS_17GridwiseGemm_WmmaILi128EaaiiaLNS_25InMemoryDataOperationEnumE0ENS_16TensorDescriptorINS_5TupleIJNS_5EmbedINS4_IJiiEEENS4_IJiNS_17integral_constantIiLi1EEEEEELb0EEENS_8RightPadIiiLb0EEESC_NS_7UnMergeINS4_IJiNS7_IiLi2EEEEEELb0EEENS_11PassThroughIiEEEEENS4_IJNS_8SequenceIJLi0EEEENSK_IJLi1EEEENSK_IJLi2EEEENSK_IJLi4EEEENSK_IJLi3EEEEEEENS4_IJNSK_IJLi1ELi2EEEESP_SO_NSK_IJLi5ELi6EEEENSK_IJLi7EEEEEEENSK_IJLi5ELi7ELi6EEEElEESW_NS3_INS4_IJSA_SC_SC_EEENS4_IJSL_SM_SN_EEENS4_IJSR_SP_SO_EEENSK_IJLi3ELi4EEEElEENS_16tensor_operation12element_wise11PassThroughES14_S14_Li64ELi128ELi64ELi16ELi16ELi2ELi2ELi4ENSK_IJLi4ELi32ELi1EEEENSK_IJLi1ELi0ELi2EEEES16_Li2ELi2ELi2ELb0ELb1ELb1ES15_S16_S16_Li2ELi2ELi2ELb0ELb1ELb1ELi1ELi1ENSK_IJLi1ELi32ELi1ELi4EEEELi8ELi1ELNS_13LoopSchedulerE0ELNS_15PipelineVersionE0EEEaaaSW_SW_NS3_INS4_IJSA_SC_SC_NSD_INS4_IJiNS7_IiLi64EEEEEELb0EEENSD_INS4_IJiNS7_IiLi128EEEEEELb0EEEEEENS4_IJSL_SM_SN_SP_SO_EEENS4_IJSR_SP_SO_SS_NSK_IJLi7ELi8EEEEEEENSK_IJLi5ELi6ELi7ELi8EEEElEES14_S14_S14_NS_31BlockToCTileMap_M00_N0_M01AdaptILi64ELi128ES11_iEELb0EEEvPKT0_PKT1_PT2_T3_T4_T5_T6_T7_T8_T9_
		.amdhsa_group_segment_fixed_size 12412
		.amdhsa_private_segment_fixed_size 0
		.amdhsa_kernarg_size 264
		.amdhsa_user_sgpr_count 15
		.amdhsa_user_sgpr_dispatch_ptr 0
		.amdhsa_user_sgpr_queue_ptr 0
		.amdhsa_user_sgpr_kernarg_segment_ptr 1
		.amdhsa_user_sgpr_dispatch_id 0
		.amdhsa_user_sgpr_private_segment_size 0
		.amdhsa_wavefront_size32 1
		.amdhsa_uses_dynamic_stack 0
		.amdhsa_enable_private_segment 0
		.amdhsa_system_sgpr_workgroup_id_x 1
		.amdhsa_system_sgpr_workgroup_id_y 0
		.amdhsa_system_sgpr_workgroup_id_z 0
		.amdhsa_system_sgpr_workgroup_info 0
		.amdhsa_system_vgpr_workitem_id 0
		.amdhsa_next_free_vgpr 141
		.amdhsa_next_free_sgpr 34
		.amdhsa_reserve_vcc 1
		.amdhsa_float_round_mode_32 0
		.amdhsa_float_round_mode_16_64 0
		.amdhsa_float_denorm_mode_32 3
		.amdhsa_float_denorm_mode_16_64 3
		.amdhsa_dx10_clamp 1
		.amdhsa_ieee_mode 1
		.amdhsa_fp16_overflow 0
		.amdhsa_workgroup_processor_mode 1
		.amdhsa_memory_ordered 1
		.amdhsa_forward_progress 0
		.amdhsa_shared_vgpr_count 0
		.amdhsa_exception_fp_ieee_invalid_op 0
		.amdhsa_exception_fp_denorm_src 0
		.amdhsa_exception_fp_ieee_div_zero 0
		.amdhsa_exception_fp_ieee_overflow 0
		.amdhsa_exception_fp_ieee_underflow 0
		.amdhsa_exception_fp_ieee_inexact 0
		.amdhsa_exception_int_div_zero 0
	.end_amdhsa_kernel
	.section	.text._ZN2ck16kernel_gemm_wmmaINS_17GridwiseGemm_WmmaILi128EaaiiaLNS_25InMemoryDataOperationEnumE0ENS_16TensorDescriptorINS_5TupleIJNS_5EmbedINS4_IJiiEEENS4_IJiNS_17integral_constantIiLi1EEEEEELb0EEENS_8RightPadIiiLb0EEESC_NS_7UnMergeINS4_IJiNS7_IiLi2EEEEEELb0EEENS_11PassThroughIiEEEEENS4_IJNS_8SequenceIJLi0EEEENSK_IJLi1EEEENSK_IJLi2EEEENSK_IJLi4EEEENSK_IJLi3EEEEEEENS4_IJNSK_IJLi1ELi2EEEESP_SO_NSK_IJLi5ELi6EEEENSK_IJLi7EEEEEEENSK_IJLi5ELi7ELi6EEEElEESW_NS3_INS4_IJSA_SC_SC_EEENS4_IJSL_SM_SN_EEENS4_IJSR_SP_SO_EEENSK_IJLi3ELi4EEEElEENS_16tensor_operation12element_wise11PassThroughES14_S14_Li64ELi128ELi64ELi16ELi16ELi2ELi2ELi4ENSK_IJLi4ELi32ELi1EEEENSK_IJLi1ELi0ELi2EEEES16_Li2ELi2ELi2ELb0ELb1ELb1ES15_S16_S16_Li2ELi2ELi2ELb0ELb1ELb1ELi1ELi1ENSK_IJLi1ELi32ELi1ELi4EEEELi8ELi1ELNS_13LoopSchedulerE0ELNS_15PipelineVersionE0EEEaaaSW_SW_NS3_INS4_IJSA_SC_SC_NSD_INS4_IJiNS7_IiLi64EEEEEELb0EEENSD_INS4_IJiNS7_IiLi128EEEEEELb0EEEEEENS4_IJSL_SM_SN_SP_SO_EEENS4_IJSR_SP_SO_SS_NSK_IJLi7ELi8EEEEEEENSK_IJLi5ELi6ELi7ELi8EEEElEES14_S14_S14_NS_31BlockToCTileMap_M00_N0_M01AdaptILi64ELi128ES11_iEELb0EEEvPKT0_PKT1_PT2_T3_T4_T5_T6_T7_T8_T9_,"axG",@progbits,_ZN2ck16kernel_gemm_wmmaINS_17GridwiseGemm_WmmaILi128EaaiiaLNS_25InMemoryDataOperationEnumE0ENS_16TensorDescriptorINS_5TupleIJNS_5EmbedINS4_IJiiEEENS4_IJiNS_17integral_constantIiLi1EEEEEELb0EEENS_8RightPadIiiLb0EEESC_NS_7UnMergeINS4_IJiNS7_IiLi2EEEEEELb0EEENS_11PassThroughIiEEEEENS4_IJNS_8SequenceIJLi0EEEENSK_IJLi1EEEENSK_IJLi2EEEENSK_IJLi4EEEENSK_IJLi3EEEEEEENS4_IJNSK_IJLi1ELi2EEEESP_SO_NSK_IJLi5ELi6EEEENSK_IJLi7EEEEEEENSK_IJLi5ELi7ELi6EEEElEESW_NS3_INS4_IJSA_SC_SC_EEENS4_IJSL_SM_SN_EEENS4_IJSR_SP_SO_EEENSK_IJLi3ELi4EEEElEENS_16tensor_operation12element_wise11PassThroughES14_S14_Li64ELi128ELi64ELi16ELi16ELi2ELi2ELi4ENSK_IJLi4ELi32ELi1EEEENSK_IJLi1ELi0ELi2EEEES16_Li2ELi2ELi2ELb0ELb1ELb1ES15_S16_S16_Li2ELi2ELi2ELb0ELb1ELb1ELi1ELi1ENSK_IJLi1ELi32ELi1ELi4EEEELi8ELi1ELNS_13LoopSchedulerE0ELNS_15PipelineVersionE0EEEaaaSW_SW_NS3_INS4_IJSA_SC_SC_NSD_INS4_IJiNS7_IiLi64EEEEEELb0EEENSD_INS4_IJiNS7_IiLi128EEEEEELb0EEEEEENS4_IJSL_SM_SN_SP_SO_EEENS4_IJSR_SP_SO_SS_NSK_IJLi7ELi8EEEEEEENSK_IJLi5ELi6ELi7ELi8EEEElEES14_S14_S14_NS_31BlockToCTileMap_M00_N0_M01AdaptILi64ELi128ES11_iEELb0EEEvPKT0_PKT1_PT2_T3_T4_T5_T6_T7_T8_T9_,comdat
.Lfunc_end2:
	.size	_ZN2ck16kernel_gemm_wmmaINS_17GridwiseGemm_WmmaILi128EaaiiaLNS_25InMemoryDataOperationEnumE0ENS_16TensorDescriptorINS_5TupleIJNS_5EmbedINS4_IJiiEEENS4_IJiNS_17integral_constantIiLi1EEEEEELb0EEENS_8RightPadIiiLb0EEESC_NS_7UnMergeINS4_IJiNS7_IiLi2EEEEEELb0EEENS_11PassThroughIiEEEEENS4_IJNS_8SequenceIJLi0EEEENSK_IJLi1EEEENSK_IJLi2EEEENSK_IJLi4EEEENSK_IJLi3EEEEEEENS4_IJNSK_IJLi1ELi2EEEESP_SO_NSK_IJLi5ELi6EEEENSK_IJLi7EEEEEEENSK_IJLi5ELi7ELi6EEEElEESW_NS3_INS4_IJSA_SC_SC_EEENS4_IJSL_SM_SN_EEENS4_IJSR_SP_SO_EEENSK_IJLi3ELi4EEEElEENS_16tensor_operation12element_wise11PassThroughES14_S14_Li64ELi128ELi64ELi16ELi16ELi2ELi2ELi4ENSK_IJLi4ELi32ELi1EEEENSK_IJLi1ELi0ELi2EEEES16_Li2ELi2ELi2ELb0ELb1ELb1ES15_S16_S16_Li2ELi2ELi2ELb0ELb1ELb1ELi1ELi1ENSK_IJLi1ELi32ELi1ELi4EEEELi8ELi1ELNS_13LoopSchedulerE0ELNS_15PipelineVersionE0EEEaaaSW_SW_NS3_INS4_IJSA_SC_SC_NSD_INS4_IJiNS7_IiLi64EEEEEELb0EEENSD_INS4_IJiNS7_IiLi128EEEEEELb0EEEEEENS4_IJSL_SM_SN_SP_SO_EEENS4_IJSR_SP_SO_SS_NSK_IJLi7ELi8EEEEEEENSK_IJLi5ELi6ELi7ELi8EEEElEES14_S14_S14_NS_31BlockToCTileMap_M00_N0_M01AdaptILi64ELi128ES11_iEELb0EEEvPKT0_PKT1_PT2_T3_T4_T5_T6_T7_T8_T9_, .Lfunc_end2-_ZN2ck16kernel_gemm_wmmaINS_17GridwiseGemm_WmmaILi128EaaiiaLNS_25InMemoryDataOperationEnumE0ENS_16TensorDescriptorINS_5TupleIJNS_5EmbedINS4_IJiiEEENS4_IJiNS_17integral_constantIiLi1EEEEEELb0EEENS_8RightPadIiiLb0EEESC_NS_7UnMergeINS4_IJiNS7_IiLi2EEEEEELb0EEENS_11PassThroughIiEEEEENS4_IJNS_8SequenceIJLi0EEEENSK_IJLi1EEEENSK_IJLi2EEEENSK_IJLi4EEEENSK_IJLi3EEEEEEENS4_IJNSK_IJLi1ELi2EEEESP_SO_NSK_IJLi5ELi6EEEENSK_IJLi7EEEEEEENSK_IJLi5ELi7ELi6EEEElEESW_NS3_INS4_IJSA_SC_SC_EEENS4_IJSL_SM_SN_EEENS4_IJSR_SP_SO_EEENSK_IJLi3ELi4EEEElEENS_16tensor_operation12element_wise11PassThroughES14_S14_Li64ELi128ELi64ELi16ELi16ELi2ELi2ELi4ENSK_IJLi4ELi32ELi1EEEENSK_IJLi1ELi0ELi2EEEES16_Li2ELi2ELi2ELb0ELb1ELb1ES15_S16_S16_Li2ELi2ELi2ELb0ELb1ELb1ELi1ELi1ENSK_IJLi1ELi32ELi1ELi4EEEELi8ELi1ELNS_13LoopSchedulerE0ELNS_15PipelineVersionE0EEEaaaSW_SW_NS3_INS4_IJSA_SC_SC_NSD_INS4_IJiNS7_IiLi64EEEEEELb0EEENSD_INS4_IJiNS7_IiLi128EEEEEELb0EEEEEENS4_IJSL_SM_SN_SP_SO_EEENS4_IJSR_SP_SO_SS_NSK_IJLi7ELi8EEEEEEENSK_IJLi5ELi6ELi7ELi8EEEElEES14_S14_S14_NS_31BlockToCTileMap_M00_N0_M01AdaptILi64ELi128ES11_iEELb0EEEvPKT0_PKT1_PT2_T3_T4_T5_T6_T7_T8_T9_
                                        ; -- End function
	.section	.AMDGPU.csdata,"",@progbits
; Kernel info:
; codeLenInByte = 7496
; NumSgprs: 36
; NumVgprs: 141
; ScratchSize: 0
; MemoryBound: 0
; FloatMode: 240
; IeeeMode: 1
; LDSByteSize: 12412 bytes/workgroup (compile time only)
; SGPRBlocks: 4
; VGPRBlocks: 17
; NumSGPRsForWavesPerEU: 36
; NumVGPRsForWavesPerEU: 141
; Occupancy: 10
; WaveLimiterHint : 0
; COMPUTE_PGM_RSRC2:SCRATCH_EN: 0
; COMPUTE_PGM_RSRC2:USER_SGPR: 15
; COMPUTE_PGM_RSRC2:TRAP_HANDLER: 0
; COMPUTE_PGM_RSRC2:TGID_X_EN: 1
; COMPUTE_PGM_RSRC2:TGID_Y_EN: 0
; COMPUTE_PGM_RSRC2:TGID_Z_EN: 0
; COMPUTE_PGM_RSRC2:TIDIG_COMP_CNT: 0
	.section	.text._ZN2ck17naive_gemm_kernelINS_13tensor_layout4gemm8RowMajorENS2_11ColumnMajorES3_aaaiNS_16tensor_operation12element_wise11PassThroughES7_S7_aaEEvPKT2_PKT3_PT4_iiiT6_T7_T8_,"axG",@progbits,_ZN2ck17naive_gemm_kernelINS_13tensor_layout4gemm8RowMajorENS2_11ColumnMajorES3_aaaiNS_16tensor_operation12element_wise11PassThroughES7_S7_aaEEvPKT2_PKT3_PT4_iiiT6_T7_T8_,comdat
	.protected	_ZN2ck17naive_gemm_kernelINS_13tensor_layout4gemm8RowMajorENS2_11ColumnMajorES3_aaaiNS_16tensor_operation12element_wise11PassThroughES7_S7_aaEEvPKT2_PKT3_PT4_iiiT6_T7_T8_ ; -- Begin function _ZN2ck17naive_gemm_kernelINS_13tensor_layout4gemm8RowMajorENS2_11ColumnMajorES3_aaaiNS_16tensor_operation12element_wise11PassThroughES7_S7_aaEEvPKT2_PKT3_PT4_iiiT6_T7_T8_
	.globl	_ZN2ck17naive_gemm_kernelINS_13tensor_layout4gemm8RowMajorENS2_11ColumnMajorES3_aaaiNS_16tensor_operation12element_wise11PassThroughES7_S7_aaEEvPKT2_PKT3_PT4_iiiT6_T7_T8_
	.p2align	8
	.type	_ZN2ck17naive_gemm_kernelINS_13tensor_layout4gemm8RowMajorENS2_11ColumnMajorES3_aaaiNS_16tensor_operation12element_wise11PassThroughES7_S7_aaEEvPKT2_PKT3_PT4_iiiT6_T7_T8_,@function
_ZN2ck17naive_gemm_kernelINS_13tensor_layout4gemm8RowMajorENS2_11ColumnMajorES3_aaaiNS_16tensor_operation12element_wise11PassThroughES7_S7_aaEEvPKT2_PKT3_PT4_iiiT6_T7_T8_: ; @_ZN2ck17naive_gemm_kernelINS_13tensor_layout4gemm8RowMajorENS2_11ColumnMajorES3_aaaiNS_16tensor_operation12element_wise11PassThroughES7_S7_aaEEvPKT2_PKT3_PT4_iiiT6_T7_T8_
; %bb.0:
	s_clause 0x1
	s_load_b32 s2, s[0:1], 0x34
	s_load_b128 s[4:7], s[0:1], 0x18
	v_and_b32_e32 v2, 0x3ff, v0
	v_bfe_u32 v3, v0, 10, 10
	s_waitcnt lgkmcnt(0)
	s_lshr_b32 s3, s2, 16
	s_and_b32 s2, s2, 0xffff
	s_delay_alu instid0(VALU_DEP_1) | instid1(SALU_CYCLE_1)
	v_mad_u64_u32 v[0:1], null, s14, s2, v[2:3]
	v_mad_u64_u32 v[1:2], null, s15, s3, v[3:4]
	s_delay_alu instid0(VALU_DEP_2) | instskip(NEXT) | instid1(VALU_DEP_2)
	v_cmp_gt_i32_e32 vcc_lo, s4, v0
	v_cmp_gt_i32_e64 s2, s5, v1
	s_delay_alu instid0(VALU_DEP_1) | instskip(NEXT) | instid1(SALU_CYCLE_1)
	s_and_b32 s2, vcc_lo, s2
	s_and_saveexec_b32 s3, s2
	s_cbranch_execz .LBB3_6
; %bb.1:
	s_load_b64 s[2:3], s[0:1], 0x10
	s_cmp_lt_i32 s6, 1
	s_cbranch_scc1 .LBB3_4
; %bb.2:
	s_load_b128 s[8:11], s[0:1], 0x0
	v_mul_lo_u32 v2, v1, s6
	v_mul_lo_u32 v4, v0, s6
	v_mov_b32_e32 v6, 0
	s_delay_alu instid0(VALU_DEP_3) | instskip(NEXT) | instid1(VALU_DEP_3)
	v_ashrrev_i32_e32 v3, 31, v2
	v_ashrrev_i32_e32 v5, 31, v4
	s_waitcnt lgkmcnt(0)
	v_add_co_u32 v2, vcc_lo, s10, v2
	s_delay_alu instid0(VALU_DEP_3)
	v_add_co_ci_u32_e32 v3, vcc_lo, s11, v3, vcc_lo
	v_add_co_u32 v4, vcc_lo, s8, v4
	v_add_co_ci_u32_e32 v5, vcc_lo, s9, v5, vcc_lo
.LBB3_3:                                ; =>This Inner Loop Header: Depth=1
	global_load_u8 v7, v[4:5], off
	global_load_u8 v8, v[2:3], off
	v_add_co_u32 v2, vcc_lo, v2, 1
	v_add_co_ci_u32_e32 v3, vcc_lo, 0, v3, vcc_lo
	v_add_co_u32 v4, vcc_lo, v4, 1
	v_add_co_ci_u32_e32 v5, vcc_lo, 0, v5, vcc_lo
	s_add_i32 s6, s6, -1
	s_delay_alu instid0(SALU_CYCLE_1)
	s_cmp_eq_u32 s6, 0
	s_waitcnt vmcnt(0)
	v_mad_u32_u24 v6, v8, v7, v6
	s_cbranch_scc0 .LBB3_3
	s_branch .LBB3_5
.LBB3_4:
	v_mov_b32_e32 v6, 0
.LBB3_5:
	v_mad_u64_u32 v[2:3], null, v0, s5, v[1:2]
	s_delay_alu instid0(VALU_DEP_1) | instskip(SKIP_2) | instid1(VALU_DEP_2)
	v_ashrrev_i32_e32 v1, 31, v2
	s_waitcnt lgkmcnt(0)
	v_add_co_u32 v0, vcc_lo, s2, v2
	v_add_co_ci_u32_e32 v1, vcc_lo, s3, v1, vcc_lo
	global_store_b8 v[0:1], v6, off
.LBB3_6:
	s_nop 0
	s_sendmsg sendmsg(MSG_DEALLOC_VGPRS)
	s_endpgm
	.section	.rodata,"a",@progbits
	.p2align	6, 0x0
	.amdhsa_kernel _ZN2ck17naive_gemm_kernelINS_13tensor_layout4gemm8RowMajorENS2_11ColumnMajorES3_aaaiNS_16tensor_operation12element_wise11PassThroughES7_S7_aaEEvPKT2_PKT3_PT4_iiiT6_T7_T8_
		.amdhsa_group_segment_fixed_size 0
		.amdhsa_private_segment_fixed_size 0
		.amdhsa_kernarg_size 296
		.amdhsa_user_sgpr_count 14
		.amdhsa_user_sgpr_dispatch_ptr 0
		.amdhsa_user_sgpr_queue_ptr 0
		.amdhsa_user_sgpr_kernarg_segment_ptr 1
		.amdhsa_user_sgpr_dispatch_id 0
		.amdhsa_user_sgpr_private_segment_size 0
		.amdhsa_wavefront_size32 1
		.amdhsa_uses_dynamic_stack 0
		.amdhsa_enable_private_segment 0
		.amdhsa_system_sgpr_workgroup_id_x 1
		.amdhsa_system_sgpr_workgroup_id_y 1
		.amdhsa_system_sgpr_workgroup_id_z 0
		.amdhsa_system_sgpr_workgroup_info 0
		.amdhsa_system_vgpr_workitem_id 1
		.amdhsa_next_free_vgpr 9
		.amdhsa_next_free_sgpr 16
		.amdhsa_reserve_vcc 1
		.amdhsa_float_round_mode_32 0
		.amdhsa_float_round_mode_16_64 0
		.amdhsa_float_denorm_mode_32 3
		.amdhsa_float_denorm_mode_16_64 3
		.amdhsa_dx10_clamp 1
		.amdhsa_ieee_mode 1
		.amdhsa_fp16_overflow 0
		.amdhsa_workgroup_processor_mode 1
		.amdhsa_memory_ordered 1
		.amdhsa_forward_progress 0
		.amdhsa_shared_vgpr_count 0
		.amdhsa_exception_fp_ieee_invalid_op 0
		.amdhsa_exception_fp_denorm_src 0
		.amdhsa_exception_fp_ieee_div_zero 0
		.amdhsa_exception_fp_ieee_overflow 0
		.amdhsa_exception_fp_ieee_underflow 0
		.amdhsa_exception_fp_ieee_inexact 0
		.amdhsa_exception_int_div_zero 0
	.end_amdhsa_kernel
	.section	.text._ZN2ck17naive_gemm_kernelINS_13tensor_layout4gemm8RowMajorENS2_11ColumnMajorES3_aaaiNS_16tensor_operation12element_wise11PassThroughES7_S7_aaEEvPKT2_PKT3_PT4_iiiT6_T7_T8_,"axG",@progbits,_ZN2ck17naive_gemm_kernelINS_13tensor_layout4gemm8RowMajorENS2_11ColumnMajorES3_aaaiNS_16tensor_operation12element_wise11PassThroughES7_S7_aaEEvPKT2_PKT3_PT4_iiiT6_T7_T8_,comdat
.Lfunc_end3:
	.size	_ZN2ck17naive_gemm_kernelINS_13tensor_layout4gemm8RowMajorENS2_11ColumnMajorES3_aaaiNS_16tensor_operation12element_wise11PassThroughES7_S7_aaEEvPKT2_PKT3_PT4_iiiT6_T7_T8_, .Lfunc_end3-_ZN2ck17naive_gemm_kernelINS_13tensor_layout4gemm8RowMajorENS2_11ColumnMajorES3_aaaiNS_16tensor_operation12element_wise11PassThroughES7_S7_aaEEvPKT2_PKT3_PT4_iiiT6_T7_T8_
                                        ; -- End function
	.section	.AMDGPU.csdata,"",@progbits
; Kernel info:
; codeLenInByte = 320
; NumSgprs: 18
; NumVgprs: 9
; ScratchSize: 0
; MemoryBound: 0
; FloatMode: 240
; IeeeMode: 1
; LDSByteSize: 0 bytes/workgroup (compile time only)
; SGPRBlocks: 2
; VGPRBlocks: 1
; NumSGPRsForWavesPerEU: 18
; NumVGPRsForWavesPerEU: 9
; Occupancy: 16
; WaveLimiterHint : 0
; COMPUTE_PGM_RSRC2:SCRATCH_EN: 0
; COMPUTE_PGM_RSRC2:USER_SGPR: 14
; COMPUTE_PGM_RSRC2:TRAP_HANDLER: 0
; COMPUTE_PGM_RSRC2:TGID_X_EN: 1
; COMPUTE_PGM_RSRC2:TGID_Y_EN: 1
; COMPUTE_PGM_RSRC2:TGID_Z_EN: 0
; COMPUTE_PGM_RSRC2:TIDIG_COMP_CNT: 1
	.text
	.p2alignl 7, 3214868480
	.fill 96, 4, 3214868480
	.type	__hip_cuid_1e1c2123702003ca,@object ; @__hip_cuid_1e1c2123702003ca
	.section	.bss,"aw",@nobits
	.globl	__hip_cuid_1e1c2123702003ca
__hip_cuid_1e1c2123702003ca:
	.byte	0                               ; 0x0
	.size	__hip_cuid_1e1c2123702003ca, 1

	.ident	"AMD clang version 19.0.0git (https://github.com/RadeonOpenCompute/llvm-project roc-6.4.0 25133 c7fe45cf4b819c5991fe208aaa96edf142730f1d)"
	.section	".note.GNU-stack","",@progbits
	.addrsig
	.addrsig_sym __hip_cuid_1e1c2123702003ca
	.amdgpu_metadata
---
amdhsa.kernels:
  - .args:           []
    .group_segment_fixed_size: 0
    .kernarg_segment_align: 4
    .kernarg_segment_size: 0
    .language:       OpenCL C
    .language_version:
      - 2
      - 0
    .max_flat_workgroup_size: 1024
    .name:           _ZN2ckL12flush_icacheEv
    .private_segment_fixed_size: 0
    .sgpr_count:     0
    .sgpr_spill_count: 0
    .symbol:         _ZN2ckL12flush_icacheEv.kd
    .uniform_work_group_size: 1
    .uses_dynamic_stack: false
    .vgpr_count:     0
    .vgpr_spill_count: 0
    .wavefront_size: 32
    .workgroup_processor_mode: 1
  - .args:
      - .address_space:  global
        .offset:         0
        .size:           8
        .value_kind:     global_buffer
      - .address_space:  global
        .offset:         8
        .size:           8
        .value_kind:     global_buffer
      - .address_space:  global
        .offset:         16
        .size:           8
        .value_kind:     global_buffer
      - .offset:         24
        .size:           72
        .value_kind:     by_value
      - .offset:         96
        .size:           72
        .value_kind:     by_value
      - .offset:         168
        .size:           80
        .value_kind:     by_value
      - .offset:         248
        .size:           1
        .value_kind:     by_value
      - .offset:         249
        .size:           1
        .value_kind:     by_value
      - .offset:         250
        .size:           1
        .value_kind:     by_value
      - .offset:         252
        .size:           12
        .value_kind:     by_value
    .group_segment_fixed_size: 12412
    .kernarg_segment_align: 8
    .kernarg_segment_size: 264
    .language:       OpenCL C
    .language_version:
      - 2
      - 0
    .max_flat_workgroup_size: 256
    .name:           _ZN2ck16kernel_gemm_wmmaINS_17GridwiseGemm_WmmaILi128EaaiiaLNS_25InMemoryDataOperationEnumE0ENS_16TensorDescriptorINS_5TupleIJNS_5EmbedINS4_IJiiEEENS4_IJiNS_17integral_constantIiLi1EEEEEELb0EEENS_8RightPadIiiLb0EEESC_NS_7UnMergeINS4_IJiNS7_IiLi2EEEEEELb0EEENS_11PassThroughIiEEEEENS4_IJNS_8SequenceIJLi0EEEENSK_IJLi1EEEENSK_IJLi2EEEENSK_IJLi4EEEENSK_IJLi3EEEEEEENS4_IJNSK_IJLi1ELi2EEEESP_SO_NSK_IJLi5ELi6EEEENSK_IJLi7EEEEEEENSK_IJLi5ELi7ELi6EEEElEESW_NS3_INS4_IJSA_SC_SC_EEENS4_IJSL_SM_SN_EEENS4_IJSR_SP_SO_EEENSK_IJLi3ELi4EEEElEENS_16tensor_operation12element_wise11PassThroughES14_S14_Li64ELi128ELi64ELi16ELi16ELi2ELi2ELi4ENSK_IJLi4ELi32ELi1EEEENSK_IJLi1ELi0ELi2EEEES16_Li2ELi2ELi2ELb0ELb1ELb1ES15_S16_S16_Li2ELi2ELi2ELb0ELb1ELb1ELi1ELi1ENSK_IJLi1ELi32ELi1ELi4EEEELi8ELi1ELNS_13LoopSchedulerE0ELNS_15PipelineVersionE0EEEaaaSW_SW_NS3_INS4_IJSA_SC_SC_NSD_INS4_IJiNS7_IiLi64EEEEEELb0EEENSD_INS4_IJiNS7_IiLi128EEEEEELb0EEEEEENS4_IJSL_SM_SN_SP_SO_EEENS4_IJSR_SP_SO_SS_NSK_IJLi7ELi8EEEEEEENSK_IJLi5ELi6ELi7ELi8EEEElEES14_S14_S14_NS_31BlockToCTileMap_M00_N0_M01AdaptILi64ELi128ES11_iEELb1EEEvPKT0_PKT1_PT2_T3_T4_T5_T6_T7_T8_T9_
    .private_segment_fixed_size: 0
    .sgpr_count:     76
    .sgpr_spill_count: 0
    .symbol:         _ZN2ck16kernel_gemm_wmmaINS_17GridwiseGemm_WmmaILi128EaaiiaLNS_25InMemoryDataOperationEnumE0ENS_16TensorDescriptorINS_5TupleIJNS_5EmbedINS4_IJiiEEENS4_IJiNS_17integral_constantIiLi1EEEEEELb0EEENS_8RightPadIiiLb0EEESC_NS_7UnMergeINS4_IJiNS7_IiLi2EEEEEELb0EEENS_11PassThroughIiEEEEENS4_IJNS_8SequenceIJLi0EEEENSK_IJLi1EEEENSK_IJLi2EEEENSK_IJLi4EEEENSK_IJLi3EEEEEEENS4_IJNSK_IJLi1ELi2EEEESP_SO_NSK_IJLi5ELi6EEEENSK_IJLi7EEEEEEENSK_IJLi5ELi7ELi6EEEElEESW_NS3_INS4_IJSA_SC_SC_EEENS4_IJSL_SM_SN_EEENS4_IJSR_SP_SO_EEENSK_IJLi3ELi4EEEElEENS_16tensor_operation12element_wise11PassThroughES14_S14_Li64ELi128ELi64ELi16ELi16ELi2ELi2ELi4ENSK_IJLi4ELi32ELi1EEEENSK_IJLi1ELi0ELi2EEEES16_Li2ELi2ELi2ELb0ELb1ELb1ES15_S16_S16_Li2ELi2ELi2ELb0ELb1ELb1ELi1ELi1ENSK_IJLi1ELi32ELi1ELi4EEEELi8ELi1ELNS_13LoopSchedulerE0ELNS_15PipelineVersionE0EEEaaaSW_SW_NS3_INS4_IJSA_SC_SC_NSD_INS4_IJiNS7_IiLi64EEEEEELb0EEENSD_INS4_IJiNS7_IiLi128EEEEEELb0EEEEEENS4_IJSL_SM_SN_SP_SO_EEENS4_IJSR_SP_SO_SS_NSK_IJLi7ELi8EEEEEEENSK_IJLi5ELi6ELi7ELi8EEEElEES14_S14_S14_NS_31BlockToCTileMap_M00_N0_M01AdaptILi64ELi128ES11_iEELb1EEEvPKT0_PKT1_PT2_T3_T4_T5_T6_T7_T8_T9_.kd
    .uniform_work_group_size: 1
    .uses_dynamic_stack: false
    .vgpr_count:     180
    .vgpr_spill_count: 0
    .wavefront_size: 32
    .workgroup_processor_mode: 1
  - .args:
      - .address_space:  global
        .offset:         0
        .size:           8
        .value_kind:     global_buffer
      - .address_space:  global
        .offset:         8
        .size:           8
        .value_kind:     global_buffer
      - .address_space:  global
        .offset:         16
        .size:           8
        .value_kind:     global_buffer
      - .offset:         24
        .size:           72
        .value_kind:     by_value
      - .offset:         96
        .size:           72
        .value_kind:     by_value
      - .offset:         168
        .size:           80
        .value_kind:     by_value
      - .offset:         248
        .size:           1
        .value_kind:     by_value
      - .offset:         249
        .size:           1
        .value_kind:     by_value
      - .offset:         250
        .size:           1
        .value_kind:     by_value
      - .offset:         252
        .size:           12
        .value_kind:     by_value
    .group_segment_fixed_size: 12412
    .kernarg_segment_align: 8
    .kernarg_segment_size: 264
    .language:       OpenCL C
    .language_version:
      - 2
      - 0
    .max_flat_workgroup_size: 256
    .name:           _ZN2ck16kernel_gemm_wmmaINS_17GridwiseGemm_WmmaILi128EaaiiaLNS_25InMemoryDataOperationEnumE0ENS_16TensorDescriptorINS_5TupleIJNS_5EmbedINS4_IJiiEEENS4_IJiNS_17integral_constantIiLi1EEEEEELb0EEENS_8RightPadIiiLb0EEESC_NS_7UnMergeINS4_IJiNS7_IiLi2EEEEEELb0EEENS_11PassThroughIiEEEEENS4_IJNS_8SequenceIJLi0EEEENSK_IJLi1EEEENSK_IJLi2EEEENSK_IJLi4EEEENSK_IJLi3EEEEEEENS4_IJNSK_IJLi1ELi2EEEESP_SO_NSK_IJLi5ELi6EEEENSK_IJLi7EEEEEEENSK_IJLi5ELi7ELi6EEEElEESW_NS3_INS4_IJSA_SC_SC_EEENS4_IJSL_SM_SN_EEENS4_IJSR_SP_SO_EEENSK_IJLi3ELi4EEEElEENS_16tensor_operation12element_wise11PassThroughES14_S14_Li64ELi128ELi64ELi16ELi16ELi2ELi2ELi4ENSK_IJLi4ELi32ELi1EEEENSK_IJLi1ELi0ELi2EEEES16_Li2ELi2ELi2ELb0ELb1ELb1ES15_S16_S16_Li2ELi2ELi2ELb0ELb1ELb1ELi1ELi1ENSK_IJLi1ELi32ELi1ELi4EEEELi8ELi1ELNS_13LoopSchedulerE0ELNS_15PipelineVersionE0EEEaaaSW_SW_NS3_INS4_IJSA_SC_SC_NSD_INS4_IJiNS7_IiLi64EEEEEELb0EEENSD_INS4_IJiNS7_IiLi128EEEEEELb0EEEEEENS4_IJSL_SM_SN_SP_SO_EEENS4_IJSR_SP_SO_SS_NSK_IJLi7ELi8EEEEEEENSK_IJLi5ELi6ELi7ELi8EEEElEES14_S14_S14_NS_31BlockToCTileMap_M00_N0_M01AdaptILi64ELi128ES11_iEELb0EEEvPKT0_PKT1_PT2_T3_T4_T5_T6_T7_T8_T9_
    .private_segment_fixed_size: 0
    .sgpr_count:     36
    .sgpr_spill_count: 0
    .symbol:         _ZN2ck16kernel_gemm_wmmaINS_17GridwiseGemm_WmmaILi128EaaiiaLNS_25InMemoryDataOperationEnumE0ENS_16TensorDescriptorINS_5TupleIJNS_5EmbedINS4_IJiiEEENS4_IJiNS_17integral_constantIiLi1EEEEEELb0EEENS_8RightPadIiiLb0EEESC_NS_7UnMergeINS4_IJiNS7_IiLi2EEEEEELb0EEENS_11PassThroughIiEEEEENS4_IJNS_8SequenceIJLi0EEEENSK_IJLi1EEEENSK_IJLi2EEEENSK_IJLi4EEEENSK_IJLi3EEEEEEENS4_IJNSK_IJLi1ELi2EEEESP_SO_NSK_IJLi5ELi6EEEENSK_IJLi7EEEEEEENSK_IJLi5ELi7ELi6EEEElEESW_NS3_INS4_IJSA_SC_SC_EEENS4_IJSL_SM_SN_EEENS4_IJSR_SP_SO_EEENSK_IJLi3ELi4EEEElEENS_16tensor_operation12element_wise11PassThroughES14_S14_Li64ELi128ELi64ELi16ELi16ELi2ELi2ELi4ENSK_IJLi4ELi32ELi1EEEENSK_IJLi1ELi0ELi2EEEES16_Li2ELi2ELi2ELb0ELb1ELb1ES15_S16_S16_Li2ELi2ELi2ELb0ELb1ELb1ELi1ELi1ENSK_IJLi1ELi32ELi1ELi4EEEELi8ELi1ELNS_13LoopSchedulerE0ELNS_15PipelineVersionE0EEEaaaSW_SW_NS3_INS4_IJSA_SC_SC_NSD_INS4_IJiNS7_IiLi64EEEEEELb0EEENSD_INS4_IJiNS7_IiLi128EEEEEELb0EEEEEENS4_IJSL_SM_SN_SP_SO_EEENS4_IJSR_SP_SO_SS_NSK_IJLi7ELi8EEEEEEENSK_IJLi5ELi6ELi7ELi8EEEElEES14_S14_S14_NS_31BlockToCTileMap_M00_N0_M01AdaptILi64ELi128ES11_iEELb0EEEvPKT0_PKT1_PT2_T3_T4_T5_T6_T7_T8_T9_.kd
    .uniform_work_group_size: 1
    .uses_dynamic_stack: false
    .vgpr_count:     141
    .vgpr_spill_count: 0
    .wavefront_size: 32
    .workgroup_processor_mode: 1
  - .args:
      - .actual_access:  read_only
        .address_space:  global
        .offset:         0
        .size:           8
        .value_kind:     global_buffer
      - .actual_access:  read_only
        .address_space:  global
        .offset:         8
        .size:           8
        .value_kind:     global_buffer
      - .actual_access:  write_only
        .address_space:  global
        .offset:         16
        .size:           8
        .value_kind:     global_buffer
      - .offset:         24
        .size:           4
        .value_kind:     by_value
      - .offset:         28
        .size:           4
        .value_kind:     by_value
      - .offset:         32
        .size:           4
        .value_kind:     by_value
      - .offset:         36
        .size:           1
        .value_kind:     by_value
      - .offset:         37
        .size:           1
        .value_kind:     by_value
      - .offset:         38
        .size:           1
        .value_kind:     by_value
      - .offset:         40
        .size:           4
        .value_kind:     hidden_block_count_x
      - .offset:         44
        .size:           4
        .value_kind:     hidden_block_count_y
      - .offset:         48
        .size:           4
        .value_kind:     hidden_block_count_z
      - .offset:         52
        .size:           2
        .value_kind:     hidden_group_size_x
      - .offset:         54
        .size:           2
        .value_kind:     hidden_group_size_y
      - .offset:         56
        .size:           2
        .value_kind:     hidden_group_size_z
      - .offset:         58
        .size:           2
        .value_kind:     hidden_remainder_x
      - .offset:         60
        .size:           2
        .value_kind:     hidden_remainder_y
      - .offset:         62
        .size:           2
        .value_kind:     hidden_remainder_z
      - .offset:         80
        .size:           8
        .value_kind:     hidden_global_offset_x
      - .offset:         88
        .size:           8
        .value_kind:     hidden_global_offset_y
      - .offset:         96
        .size:           8
        .value_kind:     hidden_global_offset_z
      - .offset:         104
        .size:           2
        .value_kind:     hidden_grid_dims
    .group_segment_fixed_size: 0
    .kernarg_segment_align: 8
    .kernarg_segment_size: 296
    .language:       OpenCL C
    .language_version:
      - 2
      - 0
    .max_flat_workgroup_size: 256
    .name:           _ZN2ck17naive_gemm_kernelINS_13tensor_layout4gemm8RowMajorENS2_11ColumnMajorES3_aaaiNS_16tensor_operation12element_wise11PassThroughES7_S7_aaEEvPKT2_PKT3_PT4_iiiT6_T7_T8_
    .private_segment_fixed_size: 0
    .sgpr_count:     18
    .sgpr_spill_count: 0
    .symbol:         _ZN2ck17naive_gemm_kernelINS_13tensor_layout4gemm8RowMajorENS2_11ColumnMajorES3_aaaiNS_16tensor_operation12element_wise11PassThroughES7_S7_aaEEvPKT2_PKT3_PT4_iiiT6_T7_T8_.kd
    .uniform_work_group_size: 1
    .uses_dynamic_stack: false
    .vgpr_count:     9
    .vgpr_spill_count: 0
    .wavefront_size: 32
    .workgroup_processor_mode: 1
amdhsa.target:   amdgcn-amd-amdhsa--gfx1100
amdhsa.version:
  - 1
  - 2
...

	.end_amdgpu_metadata
